;; amdgpu-corpus repo=ROCm/rocFFT kind=compiled arch=gfx950 opt=O3
	.text
	.amdgcn_target "amdgcn-amd-amdhsa--gfx950"
	.amdhsa_code_object_version 6
	.protected	bluestein_single_back_len425_dim1_dp_op_CI_CI ; -- Begin function bluestein_single_back_len425_dim1_dp_op_CI_CI
	.globl	bluestein_single_back_len425_dim1_dp_op_CI_CI
	.p2align	8
	.type	bluestein_single_back_len425_dim1_dp_op_CI_CI,@function
bluestein_single_back_len425_dim1_dp_op_CI_CI: ; @bluestein_single_back_len425_dim1_dp_op_CI_CI
; %bb.0:
	s_load_dwordx4 s[12:15], s[0:1], 0x28
	v_mul_u32_u24_e32 v1, 0xf10, v0
	v_lshrrev_b32_e32 v2, 16, v1
	v_mad_u64_u32 v[60:61], s[2:3], s2, 3, v[2:3]
	v_mov_b32_e32 v203, 0
	v_mov_b32_e32 v61, v203
	s_waitcnt lgkmcnt(0)
	v_cmp_gt_u64_e32 vcc, s[12:13], v[60:61]
	s_and_saveexec_b64 s[2:3], vcc
	s_cbranch_execz .LBB0_15
; %bb.1:
	s_load_dwordx4 s[4:7], s[0:1], 0x18
	s_load_dwordx2 s[2:3], s[0:1], 0x0
	v_mul_lo_u16_e32 v1, 17, v2
	v_sub_u16_e32 v202, v0, v1
	v_mov_b32_e32 v4, s14
	s_waitcnt lgkmcnt(0)
	s_load_dwordx4 s[8:11], s[4:5], 0x0
	v_mov_b32_e32 v5, s15
	v_lshlrev_b32_e32 v36, 4, v202
	global_load_dwordx4 v[74:77], v36, s[2:3]
	v_mov_b32_e32 v37, v203
	s_waitcnt lgkmcnt(0)
	v_mad_u64_u32 v[0:1], s[4:5], s10, v60, 0
	v_mov_b32_e32 v2, v1
	v_mad_u64_u32 v[2:3], s[4:5], s11, v60, v[2:3]
	v_mov_b32_e32 v1, v2
	;; [unrolled: 2-line block ×3, first 2 shown]
	v_mad_u64_u32 v[6:7], s[4:5], s9, v202, v[6:7]
	s_mul_i32 s4, s9, 25
	s_mul_hi_u32 s5, s8, 25
	v_mov_b32_e32 v3, v6
	v_lshl_add_u64 v[80:81], v[0:1], 4, v[4:5]
	s_add_i32 s5, s5, s4
	s_mul_i32 s4, s8, 25
	v_lshl_add_u64 v[4:5], v[2:3], 4, v[80:81]
	s_lshl_b64 s[12:13], s[4:5], 4
	global_load_dwordx4 v[0:3], v[4:5], off
	v_lshl_add_u64 v[8:9], v[4:5], 0, s[12:13]
	global_load_dwordx4 v[4:7], v[8:9], off
	global_load_dwordx4 v[112:115], v36, s[2:3] offset:400
	v_lshl_add_u64 v[12:13], v[8:9], 0, s[12:13]
	global_load_dwordx4 v[84:87], v36, s[2:3] offset:800
	global_load_dwordx4 v[8:11], v[12:13], off
	v_lshl_add_u64 v[16:17], v[12:13], 0, s[12:13]
	global_load_dwordx4 v[12:15], v[16:17], off
	global_load_dwordx4 v[108:111], v36, s[2:3] offset:1200
	v_lshl_add_u64 v[20:21], v[16:17], 0, s[12:13]
	global_load_dwordx4 v[16:19], v[20:21], off
	global_load_dwordx4 v[88:91], v36, s[2:3] offset:1600
	v_lshl_add_u64 v[24:25], v[20:21], 0, s[12:13]
	global_load_dwordx4 v[100:103], v36, s[2:3] offset:2000
	global_load_dwordx4 v[20:23], v[24:25], off
	v_lshl_add_u64 v[28:29], v[24:25], 0, s[12:13]
	global_load_dwordx4 v[24:27], v[28:29], off
	global_load_dwordx4 v[92:95], v36, s[2:3] offset:2400
	global_load_dwordx4 v[104:107], v36, s[2:3] offset:2800
	v_lshl_add_u64 v[32:33], v[28:29], 0, s[12:13]
	global_load_dwordx4 v[28:31], v[32:33], off
	v_lshl_add_u64 v[38:39], v[32:33], 0, s[12:13]
	global_load_dwordx4 v[32:35], v[38:39], off
	global_load_dwordx4 v[96:99], v36, s[2:3] offset:3200
	global_load_dwordx4 v[144:147], v36, s[2:3] offset:3600
	v_lshl_add_u64 v[42:43], v[38:39], 0, s[12:13]
	global_load_dwordx4 v[38:41], v[42:43], off
	global_load_dwordx4 v[136:139], v36, s[2:3] offset:4000
	v_lshl_add_u64 v[46:47], v[42:43], 0, s[12:13]
	s_movk_i32 s4, 0x1000
	v_lshl_add_u64 v[48:49], s[2:3], 0, v[36:37]
	global_load_dwordx4 v[42:45], v[46:47], off
	v_add_co_u32_e32 v82, vcc, s4, v48
	scratch_store_dwordx2 off, v[48:49], off ; 8-byte Folded Spill
	v_lshl_add_u64 v[50:51], v[46:47], 0, s[12:13]
	v_addc_co_u32_e32 v83, vcc, 0, v49, vcc
	global_load_dwordx4 v[46:49], v[50:51], off
	global_load_dwordx4 v[124:127], v[82:83], off offset:304
	v_lshl_add_u64 v[54:55], v[50:51], 0, s[12:13]
	s_mov_b32 s4, 0xaaaaaaab
	global_load_dwordx4 v[116:119], v[82:83], off offset:704
	global_load_dwordx4 v[50:53], v[54:55], off
	v_mul_hi_u32 v37, v60, s4
	v_lshl_add_u64 v[58:59], v[54:55], 0, s[12:13]
	v_lshrrev_b32_e32 v37, 1, v37
	global_load_dwordx4 v[54:57], v[58:59], off
	global_load_dwordx4 v[132:135], v[82:83], off offset:1104
	v_lshl_add_u32 v37, v37, 1, v37
	v_lshl_add_u64 v[62:63], v[58:59], 0, s[12:13]
	v_accvgpr_write_b32 a2, v60
	v_sub_u32_e32 v37, v60, v37
	global_load_dwordx4 v[120:123], v[82:83], off offset:1504
	global_load_dwordx4 v[58:61], v[62:63], off
	v_mul_u32_u24_e32 v37, 0x1a9, v37
	v_lshl_add_u64 v[66:67], v[62:63], 0, s[12:13]
	s_load_dwordx4 s[4:7], s[6:7], 0x0
	v_lshlrev_b32_e32 v149, 4, v37
	global_load_dwordx4 v[62:65], v[66:67], off
	global_load_dwordx4 v[128:131], v[82:83], off offset:1904
	v_add_u32_e32 v148, v36, v149
	v_lshl_add_u64 v[36:37], v[66:67], 0, s[12:13]
	global_load_dwordx4 v[140:143], v[82:83], off offset:2304
	global_load_dwordx4 v[66:69], v[36:37], off
	s_load_dwordx2 s[10:11], s[0:1], 0x38
	v_cmp_gt_u16_e32 vcc, 8, v202
	s_waitcnt vmcnt(34)
	v_accvgpr_write_b32 a4, v74
	v_accvgpr_write_b32 a5, v75
	;; [unrolled: 1-line block ×4, first 2 shown]
	s_waitcnt vmcnt(33)
	v_mul_f64 v[70:71], v[2:3], v[76:77]
	v_mul_f64 v[72:73], v[0:1], v[76:77]
	v_fmac_f64_e32 v[70:71], v[0:1], v[74:75]
	v_fma_f64 v[72:73], v[2:3], v[74:75], -v[72:73]
	s_waitcnt vmcnt(31)
	v_mul_f64 v[0:1], v[6:7], v[114:115]
	v_mul_f64 v[2:3], v[4:5], v[114:115]
	v_fmac_f64_e32 v[0:1], v[4:5], v[112:113]
	v_fma_f64 v[2:3], v[6:7], v[112:113], -v[2:3]
	ds_write_b128 v148, v[0:3] offset:400
	s_waitcnt vmcnt(29)
	v_mul_f64 v[0:1], v[10:11], v[86:87]
	v_mul_f64 v[2:3], v[8:9], v[86:87]
	v_fmac_f64_e32 v[0:1], v[8:9], v[84:85]
	v_fma_f64 v[2:3], v[10:11], v[84:85], -v[2:3]
	ds_write_b128 v148, v[0:3] offset:800
	;; [unrolled: 6-line block ×14, first 2 shown]
	s_waitcnt vmcnt(2)
	v_mul_f64 v[0:1], v[64:65], v[130:131]
	v_mul_f64 v[2:3], v[62:63], v[130:131]
	v_fmac_f64_e32 v[0:1], v[62:63], v[128:129]
	v_fma_f64 v[2:3], v[64:65], v[128:129], -v[2:3]
	v_accvgpr_write_b32 a36, v112
	v_accvgpr_write_b32 a8, v84
	;; [unrolled: 1-line block ×13, first 2 shown]
	ds_write_b128 v148, v[0:3] offset:6000
	s_waitcnt vmcnt(0)
	v_mul_f64 v[0:1], v[68:69], v[142:143]
	v_mul_f64 v[2:3], v[66:67], v[142:143]
	v_accvgpr_write_b32 a37, v113
	v_accvgpr_write_b32 a38, v114
	;; [unrolled: 1-line block ×39, first 2 shown]
	v_fmac_f64_e32 v[0:1], v[66:67], v[140:141]
	v_fma_f64 v[2:3], v[68:69], v[140:141], -v[2:3]
	ds_write_b128 v148, v[70:73]
	scratch_store_dwordx4 off, v[120:123], off offset:40 ; 16-byte Folded Spill
	scratch_store_dwordx4 off, v[128:131], off offset:24 ; 16-byte Folded Spill
	;; [unrolled: 1-line block ×3, first 2 shown]
	ds_write_b128 v148, v[0:3] offset:6400
	s_and_saveexec_b64 s[14:15], vcc
	s_cbranch_execz .LBB0_3
; %bb.2:
	v_mov_b32_e32 v0, 0xffffe810
	v_mad_u64_u32 v[8:9], s[16:17], s8, v0, v[36:37]
	s_mul_i32 s16, s9, 0xffffe810
	s_sub_i32 s16, s16, s8
	v_add_u32_e32 v9, s16, v9
	global_load_dwordx4 v[0:3], v[8:9], off
	scratch_load_dwordx2 v[72:73], off, off ; 8-byte Folded Reload
	v_lshl_add_u64 v[16:17], v[8:9], 0, s[12:13]
	v_lshl_add_u64 v[28:29], v[16:17], 0, s[12:13]
	;; [unrolled: 1-line block ×3, first 2 shown]
	v_or_b32_e32 v57, 0xc0, v202
	v_lshl_add_u64 v[52:53], v[40:41], 0, s[12:13]
	v_mad_u64_u32 v[54:55], s[18:19], s8, v57, 0
	v_mov_b32_e32 v56, v55
	v_mov_b32_e32 v136, 0x320
	s_mul_i32 s16, s9, 0x320
	v_or_b32_e32 v133, 0x188, v202
	v_lshlrev_b32_e32 v124, 4, v133
	s_waitcnt vmcnt(0)
	global_load_dwordx4 v[4:7], v[72:73], off offset:272
	global_load_dwordx4 v[8:11], v[72:73], off offset:672
	global_load_dwordx4 v[12:15], v[16:17], off
	s_nop 0
	global_load_dwordx4 v[16:19], v[28:29], off
	global_load_dwordx4 v[20:23], v[72:73], off offset:1072
	global_load_dwordx4 v[24:27], v[72:73], off offset:1472
	s_nop 0
	global_load_dwordx4 v[28:31], v[40:41], off
	global_load_dwordx4 v[32:35], v[72:73], off offset:1872
	global_load_dwordx4 v[36:39], v[72:73], off offset:2272
	global_load_dwordx4 v[44:47], v[52:53], off
	s_nop 0
	global_load_dwordx4 v[40:43], v[72:73], off offset:2672
	global_load_dwordx4 v[48:51], v[72:73], off offset:3072
	v_lshl_add_u64 v[52:53], v[52:53], 0, s[12:13]
	global_load_dwordx4 v[68:71], v[52:53], off
	v_lshl_add_u64 v[58:59], v[52:53], 0, s[12:13]
	v_mad_u64_u32 v[52:53], s[18:19], s9, v57, v[56:57]
	global_load_dwordx4 v[64:67], v[58:59], off
	v_mov_b32_e32 v55, v52
	v_lshl_add_u64 v[52:53], v[54:55], 4, v[80:81]
	global_load_dwordx4 v[52:55], v[52:53], off
	v_mad_u64_u32 v[76:77], s[18:19], s8, v136, v[58:59]
	v_add_u32_e32 v77, s16, v77
	global_load_dwordx4 v[56:59], v[76:77], off
	global_load_dwordx4 v[60:63], v[72:73], off offset:3472
	s_nop 0
	global_load_dwordx4 v[72:75], v[72:73], off offset:3872
	v_lshl_add_u64 v[84:85], v[76:77], 0, s[12:13]
	global_load_dwordx4 v[76:79], v[84:85], off
	v_lshl_add_u64 v[96:97], v[84:85], 0, s[12:13]
	global_load_dwordx4 v[84:87], v[96:97], off
	global_load_dwordx4 v[88:91], v[82:83], off offset:176
	global_load_dwordx4 v[92:95], v[82:83], off offset:576
	v_lshl_add_u64 v[108:109], v[96:97], 0, s[12:13]
	global_load_dwordx4 v[96:99], v[108:109], off
	global_load_dwordx4 v[100:103], v[82:83], off offset:976
	global_load_dwordx4 v[104:107], v[82:83], off offset:1376
	;; [unrolled: 4-line block ×3, first 2 shown]
	v_mad_u64_u32 v[82:83], s[18:19], s8, v133, 0
	v_lshl_add_u64 v[128:129], v[120:121], 0, s[12:13]
	global_load_dwordx4 v[120:123], v[128:129], off
	v_mov_b32_e32 v132, v83
	v_lshl_add_u64 v[134:135], v[128:129], 0, s[12:13]
	v_mad_u64_u32 v[132:133], s[12:13], s9, v133, v[132:133]
	global_load_dwordx4 v[128:131], v[134:135], off
	v_mov_b32_e32 v83, v132
	v_lshl_add_u64 v[80:81], v[82:83], 4, v[80:81]
	global_load_dwordx4 v[124:127], v124, s[2:3]
	v_mad_u64_u32 v[132:133], s[8:9], s8, v136, v[134:135]
	global_load_dwordx4 v[80:83], v[80:81], off
	v_add_u32_e32 v133, s16, v133
	global_load_dwordx4 v[132:135], v[132:133], off
	s_waitcnt vmcnt(32)
	v_mul_f64 v[136:137], v[2:3], v[6:7]
	v_mul_f64 v[6:7], v[0:1], v[6:7]
	v_fmac_f64_e32 v[136:137], v[0:1], v[4:5]
	v_fma_f64 v[138:139], v[2:3], v[4:5], -v[6:7]
	s_waitcnt vmcnt(30)
	v_mul_f64 v[0:1], v[14:15], v[10:11]
	v_mul_f64 v[2:3], v[12:13], v[10:11]
	v_fmac_f64_e32 v[0:1], v[12:13], v[8:9]
	v_fma_f64 v[2:3], v[14:15], v[8:9], -v[2:3]
	ds_write_b128 v148, v[0:3] offset:672
	s_waitcnt vmcnt(28)
	v_mul_f64 v[0:1], v[18:19], v[22:23]
	v_mul_f64 v[2:3], v[16:17], v[22:23]
	v_fmac_f64_e32 v[0:1], v[16:17], v[20:21]
	v_fma_f64 v[2:3], v[18:19], v[20:21], -v[2:3]
	ds_write_b128 v148, v[0:3] offset:1072
	;; [unrolled: 6-line block ×16, first 2 shown]
	ds_write_b128 v148, v[0:3] offset:6672
.LBB0_3:
	s_or_b64 exec, exec, s[14:15]
	s_waitcnt lgkmcnt(0)
	; wave barrier
	s_waitcnt lgkmcnt(0)
	ds_read_b128 v[76:79], v148
	ds_read_b128 v[84:87], v148 offset:400
	ds_read_b128 v[72:75], v148 offset:800
	ds_read_b128 v[60:63], v148 offset:1200
	ds_read_b128 v[52:55], v148 offset:1600
	ds_read_b128 v[44:47], v148 offset:2000
	ds_read_b128 v[36:39], v148 offset:2400
	ds_read_b128 v[68:71], v148 offset:2800
	ds_read_b128 v[24:27], v148 offset:3200
	ds_read_b128 v[28:31], v148 offset:3600
	ds_read_b128 v[32:35], v148 offset:4000
	ds_read_b128 v[40:43], v148 offset:4400
	ds_read_b128 v[48:51], v148 offset:4800
	ds_read_b128 v[56:59], v148 offset:5200
	ds_read_b128 v[64:67], v148 offset:5600
	ds_read_b128 v[80:83], v148 offset:6000
	ds_read_b128 v[88:91], v148 offset:6400
	s_load_dwordx2 s[0:1], s[0:1], 0x8
                                        ; implicit-def: $vgpr0_vgpr1
                                        ; implicit-def: $vgpr4_vgpr5
                                        ; implicit-def: $vgpr8_vgpr9
                                        ; implicit-def: $vgpr12_vgpr13
                                        ; implicit-def: $vgpr16_vgpr17
                                        ; implicit-def: $vgpr20_vgpr21
                                        ; implicit-def: $vgpr104_vgpr105
                                        ; implicit-def: $vgpr108_vgpr109
                                        ; implicit-def: $vgpr112_vgpr113
                                        ; implicit-def: $vgpr116_vgpr117
                                        ; implicit-def: $vgpr120_vgpr121
                                        ; implicit-def: $vgpr124_vgpr125
                                        ; implicit-def: $vgpr128_vgpr129
                                        ; implicit-def: $vgpr132_vgpr133
                                        ; implicit-def: $vgpr136_vgpr137
                                        ; implicit-def: $vgpr140_vgpr141
                                        ; implicit-def: $vgpr144_vgpr145
	s_and_saveexec_b64 s[8:9], vcc
	s_cbranch_execz .LBB0_5
; %bb.4:
	ds_read_b128 v[0:3], v148 offset:272
	ds_read_b128 v[4:7], v148 offset:672
	;; [unrolled: 1-line block ×17, first 2 shown]
.LBB0_5:
	s_or_b64 exec, exec, s[8:9]
	v_lshl_add_u64 v[92:93], v[202:203], 0, 17
	s_waitcnt lgkmcnt(0)
	v_add_f64 v[94:95], v[78:79], v[86:87]
	v_accvgpr_write_b32 a104, v92
	v_add_f64 v[92:93], v[76:77], v[84:85]
	v_add_f64 v[94:95], v[94:95], v[74:75]
	;; [unrolled: 1-line block ×31, first 2 shown]
	v_accvgpr_write_b32 a109, v95
	s_mov_b32 s44, 0x5d8e7cdc
	s_mov_b32 s48, 0x2a9d6da3
	;; [unrolled: 1-line block ×8, first 2 shown]
	v_accvgpr_write_b32 a108, v94
	v_accvgpr_write_b32 a107, v93
	;; [unrolled: 1-line block ×3, first 2 shown]
	v_add_f64 v[94:95], v[86:87], v[90:91]
	v_add_f64 v[86:87], v[86:87], -v[90:91]
	s_mov_b32 s45, 0xbfd71e95
	s_mov_b32 s8, 0x370991
	;; [unrolled: 1-line block ×16, first 2 shown]
	v_add_f64 v[92:93], v[84:85], v[88:89]
	v_add_f64 v[84:85], v[84:85], -v[88:89]
	v_mul_f64 v[88:89], v[86:87], s[44:45]
	s_mov_b32 s9, 0x3fedd6d0
	v_mul_f64 v[100:101], v[86:87], s[48:49]
	s_mov_b32 s15, 0x3fe7a5f6
	;; [unrolled: 2-line block ×8, first 2 shown]
	v_fma_f64 v[90:91], v[92:93], s[8:9], -v[88:89]
	v_mul_f64 v[96:97], v[84:85], s[44:45]
	v_fmac_f64_e32 v[88:89], s[8:9], v[92:93]
	v_fma_f64 v[102:103], v[92:93], s[14:15], -v[100:101]
	v_mul_f64 v[150:151], v[84:85], s[48:49]
	v_fmac_f64_e32 v[100:101], s[14:15], v[92:93]
	;; [unrolled: 3-line block ×8, first 2 shown]
	v_add_f64 v[90:91], v[76:77], v[90:91]
	v_fma_f64 v[98:99], s[8:9], v[94:95], v[96:97]
	v_add_f64 v[88:89], v[76:77], v[88:89]
	v_fma_f64 v[96:97], v[94:95], s[8:9], -v[96:97]
	v_add_f64 v[102:103], v[76:77], v[102:103]
	v_fma_f64 v[152:153], s[14:15], v[94:95], v[150:151]
	v_add_f64 v[100:101], v[76:77], v[100:101]
	v_fma_f64 v[150:151], v[94:95], s[14:15], -v[150:151]
	;; [unrolled: 4-line block ×8, first 2 shown]
	v_add_f64 v[86:87], v[74:75], v[82:83]
	v_add_f64 v[74:75], v[74:75], -v[82:83]
	v_add_f64 v[98:99], v[78:79], v[98:99]
	v_add_f64 v[96:97], v[78:79], v[96:97]
	;; [unrolled: 1-line block ×17, first 2 shown]
	v_add_f64 v[72:73], v[72:73], -v[80:81]
	v_mul_f64 v[80:81], v[74:75], s[48:49]
	v_fma_f64 v[82:83], v[84:85], s[14:15], -v[80:81]
	v_add_f64 v[82:83], v[82:83], v[90:91]
	v_mul_f64 v[90:91], v[72:73], s[48:49]
	v_fmac_f64_e32 v[80:81], s[14:15], v[84:85]
	v_fma_f64 v[92:93], s[14:15], v[86:87], v[90:91]
	v_add_f64 v[80:81], v[80:81], v[88:89]
	v_fma_f64 v[88:89], v[86:87], s[14:15], -v[90:91]
	v_mul_f64 v[90:91], v[74:75], s[46:47]
	v_add_f64 v[88:89], v[88:89], v[96:97]
	v_fma_f64 v[94:95], v[84:85], s[18:19], -v[90:91]
	v_mul_f64 v[96:97], v[72:73], s[46:47]
	v_fmac_f64_e32 v[90:91], s[18:19], v[84:85]
	v_add_f64 v[92:93], v[92:93], v[98:99]
	v_fma_f64 v[98:99], s[18:19], v[86:87], v[96:97]
	v_add_f64 v[90:91], v[90:91], v[100:101]
	v_fma_f64 v[96:97], v[86:87], s[18:19], -v[96:97]
	v_mul_f64 v[100:101], v[74:75], s[28:29]
	v_add_f64 v[94:95], v[94:95], v[102:103]
	v_add_f64 v[96:97], v[96:97], v[150:151]
	v_fma_f64 v[102:103], v[84:85], s[20:21], -v[100:101]
	v_mul_f64 v[150:151], v[72:73], s[28:29]
	v_fmac_f64_e32 v[100:101], s[20:21], v[84:85]
	v_add_f64 v[98:99], v[98:99], v[152:153]
	v_fma_f64 v[152:153], s[20:21], v[86:87], v[150:151]
	v_add_f64 v[100:101], v[100:101], v[154:155]
	v_fma_f64 v[150:151], v[86:87], s[20:21], -v[150:151]
	v_mul_f64 v[154:155], v[74:75], s[42:43]
	v_add_f64 v[102:103], v[102:103], v[156:157]
	v_add_f64 v[150:151], v[150:151], v[158:159]
	v_fma_f64 v[156:157], v[84:85], s[24:25], -v[154:155]
	v_mul_f64 v[158:159], v[72:73], s[42:43]
	v_fmac_f64_e32 v[154:155], s[24:25], v[84:85]
	s_mov_b32 s57, 0x3fe0d888
	s_mov_b32 s56, s36
	v_add_f64 v[152:153], v[152:153], v[160:161]
	v_fma_f64 v[160:161], s[24:25], v[86:87], v[158:159]
	v_add_f64 v[154:155], v[154:155], v[162:163]
	v_fma_f64 v[158:159], v[86:87], s[24:25], -v[158:159]
	v_mul_f64 v[162:163], v[74:75], s[56:57]
	v_add_f64 v[156:157], v[156:157], v[164:165]
	v_add_f64 v[158:159], v[158:159], v[166:167]
	v_fma_f64 v[164:165], v[84:85], s[22:23], -v[162:163]
	v_mul_f64 v[166:167], v[72:73], s[56:57]
	v_fmac_f64_e32 v[162:163], s[22:23], v[84:85]
	s_mov_b32 s53, 0x3feec746
	s_mov_b32 s52, s26
	;; [unrolled: 12-line block ×3, first 2 shown]
	v_add_f64 v[168:169], v[168:169], v[176:177]
	v_fma_f64 v[176:177], s[16:17], v[86:87], v[174:175]
	v_add_f64 v[170:171], v[170:171], v[178:179]
	v_fma_f64 v[174:175], v[86:87], s[16:17], -v[174:175]
	v_mul_f64 v[178:179], v[74:75], s[30:31]
	s_mov_b32 s41, 0x3fd71e95
	s_mov_b32 s40, s44
	v_add_f64 v[172:173], v[172:173], v[180:181]
	v_add_f64 v[174:175], v[174:175], v[182:183]
	v_fma_f64 v[180:181], v[84:85], s[12:13], -v[178:179]
	v_mul_f64 v[182:183], v[72:73], s[30:31]
	v_mul_f64 v[72:73], v[72:73], s[40:41]
	v_add_f64 v[180:181], v[180:181], v[188:189]
	v_fmac_f64_e32 v[178:179], s[12:13], v[84:85]
	v_mul_f64 v[74:75], v[74:75], s[40:41]
	v_fma_f64 v[188:189], s[8:9], v[86:87], v[72:73]
	v_fma_f64 v[72:73], v[86:87], s[8:9], -v[72:73]
	v_add_f64 v[178:179], v[178:179], v[186:187]
	v_fma_f64 v[186:187], v[84:85], s[8:9], -v[74:75]
	v_fmac_f64_e32 v[74:75], s[8:9], v[84:85]
	v_add_f64 v[72:73], v[72:73], v[78:79]
	v_add_f64 v[78:79], v[62:63], v[66:67]
	v_add_f64 v[62:63], v[62:63], -v[66:67]
	v_add_f64 v[74:75], v[74:75], v[76:77]
	v_add_f64 v[76:77], v[60:61], v[64:65]
	v_add_f64 v[60:61], v[60:61], -v[64:65]
	v_mul_f64 v[64:65], v[62:63], s[50:51]
	v_fma_f64 v[66:67], v[76:77], s[12:13], -v[64:65]
	v_add_f64 v[66:67], v[66:67], v[82:83]
	v_mul_f64 v[82:83], v[60:61], s[50:51]
	v_fmac_f64_e32 v[64:65], s[12:13], v[76:77]
	v_fma_f64 v[84:85], s[12:13], v[78:79], v[82:83]
	v_add_f64 v[64:65], v[64:65], v[80:81]
	v_fma_f64 v[80:81], v[78:79], s[12:13], -v[82:83]
	v_mul_f64 v[82:83], v[62:63], s[28:29]
	v_add_f64 v[176:177], v[176:177], v[184:185]
	v_fma_f64 v[184:185], s[12:13], v[86:87], v[182:183]
	v_fma_f64 v[182:183], v[86:87], s[12:13], -v[182:183]
	v_fma_f64 v[86:87], v[76:77], s[20:21], -v[82:83]
	v_fmac_f64_e32 v[82:83], s[20:21], v[76:77]
	s_mov_b32 s59, 0x3fc7851a
	s_mov_b32 s58, s42
	v_add_f64 v[80:81], v[80:81], v[88:89]
	v_mul_f64 v[88:89], v[60:61], s[28:29]
	v_add_f64 v[82:83], v[82:83], v[90:91]
	v_mul_f64 v[90:91], v[62:63], s[58:59]
	v_add_f64 v[84:85], v[84:85], v[92:93]
	v_add_f64 v[86:87], v[86:87], v[94:95]
	v_fma_f64 v[92:93], s[20:21], v[78:79], v[88:89]
	v_fma_f64 v[88:89], v[78:79], s[20:21], -v[88:89]
	v_fma_f64 v[94:95], v[76:77], s[24:25], -v[90:91]
	v_fmac_f64_e32 v[90:91], s[24:25], v[76:77]
	v_add_f64 v[88:89], v[88:89], v[96:97]
	v_mul_f64 v[96:97], v[60:61], s[58:59]
	v_add_f64 v[90:91], v[90:91], v[100:101]
	v_mul_f64 v[100:101], v[62:63], s[52:53]
	v_add_f64 v[92:93], v[92:93], v[98:99]
	v_add_f64 v[94:95], v[94:95], v[102:103]
	v_fma_f64 v[98:99], s[24:25], v[78:79], v[96:97]
	v_fma_f64 v[96:97], v[78:79], s[24:25], -v[96:97]
	v_fma_f64 v[102:103], v[76:77], s[16:17], -v[100:101]
	v_fmac_f64_e32 v[100:101], s[16:17], v[76:77]
	s_mov_b32 s39, 0x3fe58eea
	s_mov_b32 s38, s48
	v_add_f64 v[96:97], v[96:97], v[150:151]
	v_mul_f64 v[150:151], v[60:61], s[52:53]
	v_add_f64 v[100:101], v[100:101], v[154:155]
	v_mul_f64 v[154:155], v[62:63], s[38:39]
	v_add_f64 v[98:99], v[98:99], v[152:153]
	v_add_f64 v[102:103], v[102:103], v[156:157]
	v_fma_f64 v[152:153], s[16:17], v[78:79], v[150:151]
	v_fma_f64 v[150:151], v[78:79], s[16:17], -v[150:151]
	v_fma_f64 v[156:157], v[76:77], s[14:15], -v[154:155]
	v_fmac_f64_e32 v[154:155], s[14:15], v[76:77]
	v_add_f64 v[150:151], v[150:151], v[158:159]
	v_mul_f64 v[158:159], v[60:61], s[38:39]
	v_add_f64 v[154:155], v[154:155], v[162:163]
	v_mul_f64 v[162:163], v[62:63], s[44:45]
	v_add_f64 v[152:153], v[152:153], v[160:161]
	v_add_f64 v[156:157], v[156:157], v[164:165]
	v_fma_f64 v[160:161], s[14:15], v[78:79], v[158:159]
	v_fma_f64 v[158:159], v[78:79], s[14:15], -v[158:159]
	v_fma_f64 v[164:165], v[76:77], s[8:9], -v[162:163]
	v_fmac_f64_e32 v[162:163], s[8:9], v[76:77]
	;; [unrolled: 10-line block ×3, first 2 shown]
	v_mul_f64 v[62:63], v[62:63], s[36:37]
	v_add_f64 v[166:167], v[166:167], v[174:175]
	v_mul_f64 v[174:175], v[60:61], s[46:47]
	v_add_f64 v[170:171], v[170:171], v[178:179]
	v_fma_f64 v[178:179], v[76:77], s[22:23], -v[62:63]
	v_mul_f64 v[60:61], v[60:61], s[36:37]
	v_fmac_f64_e32 v[62:63], s[22:23], v[76:77]
	v_add_f64 v[172:173], v[172:173], v[180:181]
	v_fma_f64 v[180:181], s[22:23], v[78:79], v[60:61]
	v_add_f64 v[62:63], v[62:63], v[74:75]
	v_fma_f64 v[60:61], v[78:79], s[22:23], -v[60:61]
	v_add_f64 v[74:75], v[54:55], v[58:59]
	v_add_f64 v[54:55], v[54:55], -v[58:59]
	v_add_f64 v[60:61], v[60:61], v[72:73]
	v_add_f64 v[72:73], v[52:53], v[56:57]
	v_add_f64 v[52:53], v[52:53], -v[56:57]
	v_mul_f64 v[56:57], v[54:55], s[46:47]
	v_fma_f64 v[58:59], v[72:73], s[18:19], -v[56:57]
	v_add_f64 v[58:59], v[58:59], v[66:67]
	v_mul_f64 v[66:67], v[52:53], s[46:47]
	v_fmac_f64_e32 v[56:57], s[18:19], v[72:73]
	v_fma_f64 v[76:77], s[18:19], v[74:75], v[66:67]
	v_add_f64 v[56:57], v[56:57], v[64:65]
	v_fma_f64 v[64:65], v[74:75], s[18:19], -v[66:67]
	v_mul_f64 v[66:67], v[54:55], s[42:43]
	v_add_f64 v[168:169], v[168:169], v[176:177]
	v_fma_f64 v[176:177], s[18:19], v[78:79], v[174:175]
	v_fma_f64 v[174:175], v[78:79], s[18:19], -v[174:175]
	v_fma_f64 v[78:79], v[72:73], s[24:25], -v[66:67]
	v_fmac_f64_e32 v[66:67], s[24:25], v[72:73]
	v_add_f64 v[64:65], v[64:65], v[80:81]
	v_mul_f64 v[80:81], v[52:53], s[42:43]
	v_add_f64 v[66:67], v[66:67], v[82:83]
	v_mul_f64 v[82:83], v[54:55], s[52:53]
	v_add_f64 v[76:77], v[76:77], v[84:85]
	v_add_f64 v[78:79], v[78:79], v[86:87]
	v_fma_f64 v[84:85], s[24:25], v[74:75], v[80:81]
	v_fma_f64 v[80:81], v[74:75], s[24:25], -v[80:81]
	v_fma_f64 v[86:87], v[72:73], s[16:17], -v[82:83]
	v_fmac_f64_e32 v[82:83], s[16:17], v[72:73]
	v_add_f64 v[80:81], v[80:81], v[88:89]
	v_mul_f64 v[88:89], v[52:53], s[52:53]
	v_add_f64 v[82:83], v[82:83], v[90:91]
	v_mul_f64 v[90:91], v[54:55], s[40:41]
	v_add_f64 v[84:85], v[84:85], v[92:93]
	;; [unrolled: 10-line block ×4, first 2 shown]
	v_add_f64 v[102:103], v[102:103], v[156:157]
	v_fma_f64 v[152:153], s[12:13], v[74:75], v[150:151]
	v_fma_f64 v[150:151], v[74:75], s[12:13], -v[150:151]
	v_fma_f64 v[156:157], v[72:73], s[22:23], -v[154:155]
	v_fmac_f64_e32 v[154:155], s[22:23], v[72:73]
	s_mov_b32 s55, 0x3fe9895b
	s_mov_b32 s54, s28
	v_add_f64 v[150:151], v[150:151], v[158:159]
	v_mul_f64 v[158:159], v[52:53], s[36:37]
	v_add_f64 v[154:155], v[154:155], v[162:163]
	v_mul_f64 v[162:163], v[54:55], s[54:55]
	v_add_f64 v[152:153], v[152:153], v[160:161]
	v_add_f64 v[156:157], v[156:157], v[164:165]
	v_fma_f64 v[160:161], s[22:23], v[74:75], v[158:159]
	v_fma_f64 v[158:159], v[74:75], s[22:23], -v[158:159]
	v_fma_f64 v[164:165], v[72:73], s[20:21], -v[162:163]
	v_fmac_f64_e32 v[162:163], s[20:21], v[72:73]
	v_mul_f64 v[54:55], v[54:55], s[38:39]
	v_add_f64 v[158:159], v[158:159], v[166:167]
	v_mul_f64 v[166:167], v[52:53], s[54:55]
	v_add_f64 v[162:163], v[162:163], v[170:171]
	v_fma_f64 v[170:171], v[72:73], s[14:15], -v[54:55]
	v_mul_f64 v[52:53], v[52:53], s[38:39]
	v_fmac_f64_e32 v[54:55], s[14:15], v[72:73]
	v_add_f64 v[164:165], v[164:165], v[172:173]
	v_fma_f64 v[172:173], s[14:15], v[74:75], v[52:53]
	v_add_f64 v[54:55], v[54:55], v[62:63]
	v_fma_f64 v[52:53], v[74:75], s[14:15], -v[52:53]
	v_add_f64 v[62:63], v[46:47], v[50:51]
	v_add_f64 v[46:47], v[46:47], -v[50:51]
	v_add_f64 v[52:53], v[52:53], v[60:61]
	v_add_f64 v[60:61], v[44:45], v[48:49]
	v_add_f64 v[44:45], v[44:45], -v[48:49]
	v_mul_f64 v[48:49], v[46:47], s[26:27]
	v_fma_f64 v[50:51], v[60:61], s[16:17], -v[48:49]
	v_add_f64 v[50:51], v[50:51], v[58:59]
	v_mul_f64 v[58:59], v[44:45], s[26:27]
	v_fmac_f64_e32 v[48:49], s[16:17], v[60:61]
	v_fma_f64 v[72:73], s[16:17], v[62:63], v[58:59]
	v_add_f64 v[48:49], v[48:49], v[56:57]
	v_fma_f64 v[56:57], v[62:63], s[16:17], -v[58:59]
	v_mul_f64 v[58:59], v[46:47], s[56:57]
	v_add_f64 v[160:161], v[160:161], v[168:169]
	v_fma_f64 v[168:169], s[20:21], v[74:75], v[166:167]
	v_fma_f64 v[166:167], v[74:75], s[20:21], -v[166:167]
	v_add_f64 v[56:57], v[56:57], v[64:65]
	v_fma_f64 v[64:65], v[60:61], s[22:23], -v[58:59]
	v_mul_f64 v[74:75], v[44:45], s[56:57]
	v_fmac_f64_e32 v[58:59], s[22:23], v[60:61]
	v_add_f64 v[72:73], v[72:73], v[76:77]
	v_fma_f64 v[76:77], s[22:23], v[62:63], v[74:75]
	v_add_f64 v[58:59], v[58:59], v[66:67]
	v_fma_f64 v[66:67], v[62:63], s[22:23], -v[74:75]
	v_mul_f64 v[74:75], v[46:47], s[38:39]
	v_add_f64 v[64:65], v[64:65], v[78:79]
	v_fma_f64 v[78:79], v[60:61], s[14:15], -v[74:75]
	v_fmac_f64_e32 v[74:75], s[14:15], v[60:61]
	v_add_f64 v[66:67], v[66:67], v[80:81]
	v_mul_f64 v[80:81], v[44:45], s[38:39]
	v_add_f64 v[74:75], v[74:75], v[82:83]
	v_mul_f64 v[82:83], v[46:47], s[50:51]
	v_add_f64 v[76:77], v[76:77], v[84:85]
	v_add_f64 v[78:79], v[78:79], v[86:87]
	v_fma_f64 v[84:85], s[14:15], v[62:63], v[80:81]
	v_fma_f64 v[80:81], v[62:63], s[14:15], -v[80:81]
	v_fma_f64 v[86:87], v[60:61], s[12:13], -v[82:83]
	v_fmac_f64_e32 v[82:83], s[12:13], v[60:61]
	v_add_f64 v[80:81], v[80:81], v[88:89]
	v_mul_f64 v[88:89], v[44:45], s[50:51]
	v_add_f64 v[82:83], v[82:83], v[90:91]
	v_mul_f64 v[90:91], v[46:47], s[42:43]
	v_add_f64 v[84:85], v[84:85], v[92:93]
	v_add_f64 v[86:87], v[86:87], v[94:95]
	v_fma_f64 v[92:93], s[12:13], v[62:63], v[88:89]
	v_fma_f64 v[88:89], v[62:63], s[12:13], -v[88:89]
	v_fma_f64 v[94:95], v[60:61], s[24:25], -v[90:91]
	v_fmac_f64_e32 v[90:91], s[24:25], v[60:61]
	s_mov_b32 s35, 0x3fefdd0d
	s_mov_b32 s34, s46
	v_add_f64 v[88:89], v[88:89], v[96:97]
	v_mul_f64 v[96:97], v[44:45], s[42:43]
	v_add_f64 v[90:91], v[90:91], v[100:101]
	v_mul_f64 v[100:101], v[46:47], s[34:35]
	v_add_f64 v[92:93], v[92:93], v[98:99]
	v_add_f64 v[94:95], v[94:95], v[102:103]
	v_fma_f64 v[98:99], s[24:25], v[62:63], v[96:97]
	v_fma_f64 v[96:97], v[62:63], s[24:25], -v[96:97]
	v_fma_f64 v[102:103], v[60:61], s[18:19], -v[100:101]
	v_fmac_f64_e32 v[100:101], s[18:19], v[60:61]
	v_add_f64 v[96:97], v[96:97], v[150:151]
	v_mul_f64 v[150:151], v[44:45], s[34:35]
	v_add_f64 v[100:101], v[100:101], v[154:155]
	v_mul_f64 v[154:155], v[46:47], s[44:45]
	v_add_f64 v[98:99], v[98:99], v[152:153]
	v_add_f64 v[102:103], v[102:103], v[156:157]
	v_fma_f64 v[152:153], s[18:19], v[62:63], v[150:151]
	v_fma_f64 v[150:151], v[62:63], s[18:19], -v[150:151]
	v_fma_f64 v[156:157], v[60:61], s[8:9], -v[154:155]
	v_fmac_f64_e32 v[154:155], s[8:9], v[60:61]
	v_mul_f64 v[46:47], v[46:47], s[28:29]
	v_add_f64 v[150:151], v[150:151], v[158:159]
	v_mul_f64 v[158:159], v[44:45], s[44:45]
	v_add_f64 v[154:155], v[154:155], v[162:163]
	v_fma_f64 v[162:163], v[60:61], s[20:21], -v[46:47]
	v_mul_f64 v[44:45], v[44:45], s[28:29]
	v_fmac_f64_e32 v[46:47], s[20:21], v[60:61]
	v_add_f64 v[156:157], v[156:157], v[164:165]
	v_fma_f64 v[164:165], s[20:21], v[62:63], v[44:45]
	v_add_f64 v[46:47], v[46:47], v[54:55]
	v_fma_f64 v[44:45], v[62:63], s[20:21], -v[44:45]
	v_add_f64 v[54:55], v[38:39], v[42:43]
	v_add_f64 v[38:39], v[38:39], -v[42:43]
	v_add_f64 v[44:45], v[44:45], v[52:53]
	v_add_f64 v[52:53], v[36:37], v[40:41]
	v_add_f64 v[36:37], v[36:37], -v[40:41]
	v_mul_f64 v[40:41], v[38:39], s[28:29]
	v_fma_f64 v[42:43], v[52:53], s[20:21], -v[40:41]
	v_add_f64 v[42:43], v[42:43], v[50:51]
	v_mul_f64 v[50:51], v[36:37], s[28:29]
	v_fmac_f64_e32 v[40:41], s[20:21], v[52:53]
	v_fma_f64 v[60:61], s[20:21], v[54:55], v[50:51]
	v_add_f64 v[40:41], v[40:41], v[48:49]
	v_fma_f64 v[48:49], v[54:55], s[20:21], -v[50:51]
	v_mul_f64 v[50:51], v[38:39], s[52:53]
	v_add_f64 v[152:153], v[152:153], v[160:161]
	v_fma_f64 v[160:161], s[8:9], v[62:63], v[158:159]
	v_fma_f64 v[158:159], v[62:63], s[8:9], -v[158:159]
	v_add_f64 v[48:49], v[48:49], v[56:57]
	v_fma_f64 v[56:57], v[52:53], s[16:17], -v[50:51]
	v_mul_f64 v[62:63], v[36:37], s[52:53]
	v_fmac_f64_e32 v[50:51], s[16:17], v[52:53]
	v_add_f64 v[56:57], v[56:57], v[64:65]
	v_fma_f64 v[64:65], s[16:17], v[54:55], v[62:63]
	v_add_f64 v[50:51], v[50:51], v[58:59]
	v_fma_f64 v[58:59], v[54:55], s[16:17], -v[62:63]
	v_mul_f64 v[62:63], v[38:39], s[44:45]
	v_add_f64 v[58:59], v[58:59], v[66:67]
	v_fma_f64 v[66:67], v[52:53], s[8:9], -v[62:63]
	v_fmac_f64_e32 v[62:63], s[8:9], v[52:53]
	v_add_f64 v[60:61], v[60:61], v[72:73]
	v_mul_f64 v[72:73], v[36:37], s[44:45]
	v_add_f64 v[62:63], v[62:63], v[74:75]
	v_mul_f64 v[74:75], v[38:39], s[36:37]
	v_add_f64 v[64:65], v[64:65], v[76:77]
	v_add_f64 v[66:67], v[66:67], v[78:79]
	v_fma_f64 v[76:77], s[8:9], v[54:55], v[72:73]
	v_fma_f64 v[72:73], v[54:55], s[8:9], -v[72:73]
	v_fma_f64 v[78:79], v[52:53], s[22:23], -v[74:75]
	v_fmac_f64_e32 v[74:75], s[22:23], v[52:53]
	v_add_f64 v[72:73], v[72:73], v[80:81]
	v_mul_f64 v[80:81], v[36:37], s[36:37]
	v_add_f64 v[74:75], v[74:75], v[82:83]
	v_mul_f64 v[82:83], v[38:39], s[34:35]
	v_add_f64 v[76:77], v[76:77], v[84:85]
	v_add_f64 v[78:79], v[78:79], v[86:87]
	v_fma_f64 v[84:85], s[22:23], v[54:55], v[80:81]
	v_fma_f64 v[80:81], v[54:55], s[22:23], -v[80:81]
	;; [unrolled: 10-line block ×4, first 2 shown]
	v_fma_f64 v[102:103], v[52:53], s[24:25], -v[100:101]
	v_fmac_f64_e32 v[100:101], s[24:25], v[52:53]
	v_mul_f64 v[38:39], v[38:39], s[30:31]
	v_add_f64 v[96:97], v[96:97], v[150:151]
	v_mul_f64 v[150:151], v[36:37], s[42:43]
	v_add_f64 v[100:101], v[100:101], v[154:155]
	v_fma_f64 v[154:155], v[52:53], s[12:13], -v[38:39]
	v_mul_f64 v[36:37], v[36:37], s[30:31]
	v_fmac_f64_e32 v[38:39], s[12:13], v[52:53]
	v_add_f64 v[102:103], v[102:103], v[156:157]
	v_fma_f64 v[156:157], s[12:13], v[54:55], v[36:37]
	v_add_f64 v[38:39], v[38:39], v[46:47]
	v_fma_f64 v[36:37], v[54:55], s[12:13], -v[36:37]
	v_add_f64 v[46:47], v[70:71], v[34:35]
	v_add_f64 v[34:35], v[70:71], -v[34:35]
	v_add_f64 v[36:37], v[36:37], v[44:45]
	v_add_f64 v[44:45], v[68:69], v[32:33]
	v_mul_f64 v[52:53], v[34:35], s[36:37]
	v_add_f64 v[98:99], v[98:99], v[152:153]
	v_fma_f64 v[152:153], s[24:25], v[54:55], v[150:151]
	v_fma_f64 v[150:151], v[54:55], s[24:25], -v[150:151]
	v_add_f64 v[32:33], v[68:69], -v[32:33]
	v_fma_f64 v[54:55], v[44:45], s[22:23], -v[52:53]
	v_add_f64 v[42:43], v[54:55], v[42:43]
	v_mul_f64 v[54:55], v[32:33], s[36:37]
	v_fmac_f64_e32 v[52:53], s[22:23], v[44:45]
	v_add_f64 v[40:41], v[52:53], v[40:41]
	v_fma_f64 v[52:53], v[46:47], s[22:23], -v[54:55]
	v_add_f64 v[48:49], v[52:53], v[48:49]
	v_mul_f64 v[52:53], v[34:35], s[30:31]
	v_fma_f64 v[68:69], s[22:23], v[46:47], v[54:55]
	v_fma_f64 v[54:55], v[44:45], s[12:13], -v[52:53]
	v_add_f64 v[54:55], v[54:55], v[56:57]
	v_mul_f64 v[56:57], v[32:33], s[30:31]
	v_fmac_f64_e32 v[52:53], s[12:13], v[44:45]
	v_add_f64 v[60:61], v[68:69], v[60:61]
	v_fma_f64 v[68:69], s[12:13], v[46:47], v[56:57]
	v_add_f64 v[50:51], v[52:53], v[50:51]
	v_fma_f64 v[52:53], v[46:47], s[12:13], -v[56:57]
	v_mul_f64 v[56:57], v[34:35], s[46:47]
	v_add_f64 v[52:53], v[52:53], v[58:59]
	v_fma_f64 v[58:59], v[44:45], s[18:19], -v[56:57]
	v_add_f64 v[58:59], v[58:59], v[66:67]
	v_mul_f64 v[66:67], v[32:33], s[46:47]
	v_fmac_f64_e32 v[56:57], s[18:19], v[44:45]
	v_add_f64 v[64:65], v[68:69], v[64:65]
	v_fma_f64 v[68:69], s[18:19], v[46:47], v[66:67]
	v_add_f64 v[56:57], v[56:57], v[62:63]
	v_fma_f64 v[62:63], v[46:47], s[18:19], -v[66:67]
	v_mul_f64 v[66:67], v[34:35], s[54:55]
	v_fma_f64 v[70:71], v[44:45], s[20:21], -v[66:67]
	v_fmac_f64_e32 v[66:67], s[20:21], v[44:45]
	v_add_f64 v[62:63], v[62:63], v[72:73]
	v_mul_f64 v[72:73], v[32:33], s[54:55]
	v_add_f64 v[66:67], v[66:67], v[74:75]
	v_mul_f64 v[74:75], v[34:35], s[44:45]
	v_add_f64 v[68:69], v[68:69], v[76:77]
	v_add_f64 v[70:71], v[70:71], v[78:79]
	v_fma_f64 v[76:77], s[20:21], v[46:47], v[72:73]
	v_fma_f64 v[72:73], v[46:47], s[20:21], -v[72:73]
	v_fma_f64 v[78:79], v[44:45], s[8:9], -v[74:75]
	v_fmac_f64_e32 v[74:75], s[8:9], v[44:45]
	v_add_f64 v[72:73], v[72:73], v[80:81]
	v_mul_f64 v[80:81], v[32:33], s[44:45]
	v_add_f64 v[74:75], v[74:75], v[82:83]
	v_mul_f64 v[82:83], v[34:35], s[42:43]
	v_add_f64 v[76:77], v[76:77], v[84:85]
	v_add_f64 v[78:79], v[78:79], v[86:87]
	v_fma_f64 v[84:85], s[8:9], v[46:47], v[80:81]
	v_fma_f64 v[80:81], v[46:47], s[8:9], -v[80:81]
	v_fma_f64 v[86:87], v[44:45], s[24:25], -v[82:83]
	v_fmac_f64_e32 v[82:83], s[24:25], v[44:45]
	v_add_f64 v[80:81], v[80:81], v[88:89]
	v_mul_f64 v[88:89], v[32:33], s[42:43]
	v_add_f64 v[82:83], v[82:83], v[90:91]
	v_mul_f64 v[90:91], v[34:35], s[38:39]
	v_add_f64 v[84:85], v[84:85], v[92:93]
	v_add_f64 v[86:87], v[86:87], v[94:95]
	v_fma_f64 v[92:93], s[24:25], v[46:47], v[88:89]
	v_fma_f64 v[88:89], v[46:47], s[24:25], -v[88:89]
	v_fma_f64 v[94:95], v[44:45], s[14:15], -v[90:91]
	v_fmac_f64_e32 v[90:91], s[14:15], v[44:45]
	v_mul_f64 v[34:35], v[34:35], s[26:27]
	v_add_f64 v[184:185], v[184:185], v[192:193]
	v_add_f64 v[188:189], v[188:189], v[196:197]
	;; [unrolled: 1-line block ×3, first 2 shown]
	v_mul_f64 v[96:97], v[32:33], s[38:39]
	v_add_f64 v[90:91], v[90:91], v[100:101]
	v_fma_f64 v[100:101], v[44:45], s[16:17], -v[34:35]
	v_mul_f64 v[32:33], v[32:33], s[26:27]
	v_fmac_f64_e32 v[34:35], s[16:17], v[44:45]
	v_add_f64 v[186:187], v[186:187], v[194:195]
	v_add_f64 v[176:177], v[176:177], v[184:185]
	;; [unrolled: 1-line block ×4, first 2 shown]
	v_fma_f64 v[102:103], s[16:17], v[46:47], v[32:33]
	v_add_f64 v[34:35], v[34:35], v[38:39]
	v_fma_f64 v[32:33], v[46:47], s[16:17], -v[32:33]
	v_add_f64 v[38:39], v[26:27], v[30:31]
	v_add_f64 v[26:27], v[26:27], -v[30:31]
	v_add_f64 v[178:179], v[178:179], v[186:187]
	v_add_f64 v[168:169], v[168:169], v[176:177]
	;; [unrolled: 1-line block ×5, first 2 shown]
	v_add_f64 v[24:25], v[24:25], -v[28:29]
	v_mul_f64 v[28:29], v[26:27], s[42:43]
	v_add_f64 v[170:171], v[170:171], v[178:179]
	v_add_f64 v[160:161], v[160:161], v[168:169]
	;; [unrolled: 1-line block ×3, first 2 shown]
	v_fma_f64 v[30:31], v[36:37], s[24:25], -v[28:29]
	v_add_f64 v[162:163], v[162:163], v[170:171]
	v_add_f64 v[152:153], v[152:153], v[160:161]
	;; [unrolled: 1-line block ×4, first 2 shown]
	v_fma_f64 v[98:99], s[14:15], v[46:47], v[96:97]
	v_add_f64 v[164:165], v[30:31], v[42:43]
	v_mul_f64 v[30:31], v[24:25], s[42:43]
	v_fmac_f64_e32 v[28:29], s[24:25], v[36:37]
	v_add_f64 v[154:155], v[154:155], v[162:163]
	v_add_f64 v[98:99], v[98:99], v[152:153]
	;; [unrolled: 1-line block ×3, first 2 shown]
	v_fma_f64 v[28:29], v[38:39], s[24:25], -v[30:31]
	v_add_f64 v[182:183], v[182:183], v[190:191]
	v_add_f64 v[100:101], v[100:101], v[154:155]
	;; [unrolled: 1-line block ×3, first 2 shown]
	v_mul_f64 v[28:29], v[26:27], s[40:41]
	v_add_f64 v[174:175], v[174:175], v[182:183]
	v_fma_f64 v[42:43], s[24:25], v[38:39], v[30:31]
	v_fma_f64 v[30:31], v[36:37], s[8:9], -v[28:29]
	v_add_f64 v[166:167], v[166:167], v[174:175]
	v_add_f64 v[172:173], v[30:31], v[54:55]
	v_mul_f64 v[30:31], v[24:25], s[40:41]
	v_fmac_f64_e32 v[28:29], s[8:9], v[36:37]
	v_add_f64 v[158:159], v[158:159], v[166:167]
	v_add_f64 v[102:103], v[102:103], v[156:157]
	;; [unrolled: 1-line block ×3, first 2 shown]
	v_fma_f64 v[28:29], v[38:39], s[8:9], -v[30:31]
	v_add_f64 v[150:151], v[150:151], v[158:159]
	v_add_f64 v[158:159], v[28:29], v[52:53]
	v_mul_f64 v[28:29], v[26:27], s[36:37]
	v_fma_f64 v[40:41], s[8:9], v[38:39], v[30:31]
	v_fma_f64 v[30:31], v[36:37], s[22:23], -v[28:29]
	v_add_f64 v[176:177], v[30:31], v[58:59]
	v_mul_f64 v[30:31], v[24:25], s[36:37]
	v_fmac_f64_e32 v[28:29], s[22:23], v[36:37]
	v_add_f64 v[160:161], v[28:29], v[56:57]
	v_fma_f64 v[28:29], v[38:39], s[22:23], -v[30:31]
	v_add_f64 v[162:163], v[28:29], v[62:63]
	v_mul_f64 v[28:29], v[26:27], s[38:39]
	v_add_f64 v[174:175], v[40:41], v[64:65]
	v_fma_f64 v[40:41], s[22:23], v[38:39], v[30:31]
	v_fma_f64 v[30:31], v[36:37], s[14:15], -v[28:29]
	v_add_f64 v[184:185], v[30:31], v[70:71]
	v_mul_f64 v[30:31], v[24:25], s[38:39]
	v_fmac_f64_e32 v[28:29], s[14:15], v[36:37]
	v_add_f64 v[168:169], v[28:29], v[66:67]
	v_fma_f64 v[28:29], v[38:39], s[14:15], -v[30:31]
	v_add_f64 v[170:171], v[28:29], v[72:73]
	v_mul_f64 v[28:29], v[26:27], s[28:29]
	v_add_f64 v[178:179], v[40:41], v[68:69]
	v_fma_f64 v[40:41], s[14:15], v[38:39], v[30:31]
	v_fma_f64 v[30:31], v[36:37], s[20:21], -v[28:29]
	v_add_f64 v[192:193], v[30:31], v[78:79]
	v_mul_f64 v[30:31], v[24:25], s[28:29]
	v_fmac_f64_e32 v[28:29], s[20:21], v[36:37]
	v_add_f64 v[180:181], v[28:29], v[74:75]
	v_fma_f64 v[28:29], v[38:39], s[20:21], -v[30:31]
	v_add_f64 v[182:183], v[28:29], v[80:81]
	v_mul_f64 v[28:29], v[26:27], s[30:31]
	v_add_f64 v[186:187], v[40:41], v[76:77]
	v_fma_f64 v[40:41], s[20:21], v[38:39], v[30:31]
	v_fma_f64 v[30:31], v[36:37], s[12:13], -v[28:29]
	v_add_f64 v[196:197], v[30:31], v[86:87]
	v_mul_f64 v[30:31], v[24:25], s[30:31]
	v_fmac_f64_e32 v[28:29], s[12:13], v[36:37]
	v_add_f64 v[188:189], v[28:29], v[82:83]
	v_fma_f64 v[28:29], v[38:39], s[12:13], -v[30:31]
	v_add_f64 v[190:191], v[28:29], v[88:89]
	v_mul_f64 v[28:29], v[26:27], s[26:27]
	v_add_f64 v[194:195], v[40:41], v[84:85]
	v_fma_f64 v[40:41], s[12:13], v[38:39], v[30:31]
	v_fma_f64 v[30:31], v[36:37], s[16:17], -v[28:29]
	v_fma_f64 v[96:97], v[46:47], s[14:15], -v[96:97]
	v_add_f64 v[204:205], v[30:31], v[94:95]
	v_mul_f64 v[30:31], v[24:25], s[26:27]
	v_fmac_f64_e32 v[28:29], s[16:17], v[36:37]
	v_add_f64 v[96:97], v[96:97], v[150:151]
	v_add_f64 v[200:201], v[28:29], v[90:91]
	v_fma_f64 v[28:29], v[38:39], s[16:17], -v[30:31]
	v_accvgpr_write_b32 a180, v202
	v_mul_f64 v[26:27], v[26:27], s[34:35]
	v_accvgpr_write_b32 a181, v203
	v_add_f64 v[202:203], v[28:29], v[96:97]
	v_fma_f64 v[28:29], v[36:37], s[18:19], -v[26:27]
	v_mul_f64 v[24:25], v[24:25], s[34:35]
	v_fmac_f64_e32 v[26:27], s[18:19], v[36:37]
	v_add_f64 v[208:209], v[28:29], v[100:101]
	v_fma_f64 v[28:29], s[18:19], v[38:39], v[24:25]
	v_add_f64 v[212:213], v[26:27], v[34:35]
	v_fma_f64 v[24:25], v[38:39], s[18:19], -v[24:25]
	v_add_f64 v[26:27], v[6:7], -v[146:147]
	v_add_f64 v[210:211], v[28:29], v[102:103]
	v_add_f64 v[214:215], v[24:25], v[32:33]
	v_add_f64 v[24:25], v[4:5], -v[144:145]
	v_mul_f64 v[28:29], v[26:27], s[44:45]
	v_add_f64 v[70:71], v[10:11], -v[142:143]
	v_add_f64 v[198:199], v[40:41], v[92:93]
	v_fma_f64 v[40:41], s[16:17], v[38:39], v[30:31]
	v_add_f64 v[52:53], v[4:5], v[144:145]
	v_mul_f64 v[30:31], v[24:25], s[44:45]
	v_accvgpr_write_b32 a111, v29
	v_mul_f64 v[72:73], v[70:71], s[48:49]
	v_add_f64 v[54:55], v[6:7], v[146:147]
	v_accvgpr_write_b32 a110, v28
	v_fma_f64 v[28:29], s[8:9], v[52:53], v[28:29]
	v_accvgpr_write_b32 a113, v31
	v_add_f64 v[66:67], v[8:9], v[140:141]
	v_add_f64 v[64:65], v[8:9], -v[140:141]
	v_accvgpr_write_b32 a121, v73
	v_add_f64 v[28:29], v[0:1], v[28:29]
	v_accvgpr_write_b32 a112, v30
	v_fma_f64 v[30:31], v[54:55], s[8:9], -v[30:31]
	v_add_f64 v[68:69], v[10:11], v[142:143]
	v_mul_f64 v[74:75], v[64:65], s[48:49]
	v_accvgpr_write_b32 a120, v72
	v_fma_f64 v[72:73], s[14:15], v[66:67], v[72:73]
	v_add_f64 v[30:31], v[2:3], v[30:31]
	v_mul_f64 v[32:33], v[26:27], s[48:49]
	v_add_f64 v[28:29], v[72:73], v[28:29]
	v_fma_f64 v[72:73], v[68:69], s[14:15], -v[74:75]
	v_mul_f64 v[34:35], v[24:25], s[48:49]
	v_accvgpr_write_b32 a115, v33
	v_add_f64 v[30:31], v[72:73], v[30:31]
	v_mul_f64 v[72:73], v[70:71], s[46:47]
	v_accvgpr_write_b32 a114, v32
	v_fma_f64 v[32:33], s[14:15], v[52:53], v[32:33]
	v_accvgpr_write_b32 a117, v35
	v_accvgpr_write_b32 a123, v75
	;; [unrolled: 1-line block ×3, first 2 shown]
	v_add_f64 v[32:33], v[0:1], v[32:33]
	v_accvgpr_write_b32 a116, v34
	v_fma_f64 v[34:35], v[54:55], s[14:15], -v[34:35]
	v_accvgpr_write_b32 a122, v74
	v_mul_f64 v[74:75], v[64:65], s[46:47]
	v_accvgpr_write_b32 a126, v72
	v_fma_f64 v[72:73], s[18:19], v[66:67], v[72:73]
	v_add_f64 v[34:35], v[2:3], v[34:35]
	v_mul_f64 v[36:37], v[26:27], s[50:51]
	v_add_f64 v[32:33], v[72:73], v[32:33]
	v_fma_f64 v[72:73], v[68:69], s[18:19], -v[74:75]
	v_mul_f64 v[38:39], v[24:25], s[50:51]
	v_accvgpr_write_b32 a119, v37
	v_add_f64 v[34:35], v[72:73], v[34:35]
	v_mul_f64 v[72:73], v[70:71], s[28:29]
	v_accvgpr_write_b32 a118, v36
	v_fma_f64 v[36:37], s[12:13], v[52:53], v[36:37]
	v_accvgpr_write_b32 a125, v39
	v_accvgpr_write_b32 a131, v75
	v_accvgpr_write_b32 a139, v73
	v_add_f64 v[36:37], v[0:1], v[36:37]
	v_accvgpr_write_b32 a124, v38
	v_fma_f64 v[38:39], v[54:55], s[12:13], -v[38:39]
	v_accvgpr_write_b32 a130, v74
	v_mul_f64 v[74:75], v[64:65], s[28:29]
	v_accvgpr_write_b32 a138, v72
	v_fma_f64 v[72:73], s[20:21], v[66:67], v[72:73]
	v_add_f64 v[206:207], v[40:41], v[98:99]
	v_add_f64 v[38:39], v[2:3], v[38:39]
	v_mul_f64 v[40:41], v[26:27], s[46:47]
	v_add_f64 v[36:37], v[72:73], v[36:37]
	v_fma_f64 v[72:73], v[68:69], s[20:21], -v[74:75]
	v_add_f64 v[166:167], v[42:43], v[60:61]
	v_mul_f64 v[42:43], v[24:25], s[46:47]
	v_accvgpr_write_b32 a129, v41
	v_add_f64 v[38:39], v[72:73], v[38:39]
	v_mul_f64 v[72:73], v[70:71], s[42:43]
	v_accvgpr_write_b32 a128, v40
	v_fma_f64 v[40:41], s[18:19], v[52:53], v[40:41]
	v_accvgpr_write_b32 a133, v43
	v_accvgpr_write_b32 a147, v75
	v_accvgpr_write_b32 a155, v73
	v_add_f64 v[40:41], v[0:1], v[40:41]
	v_accvgpr_write_b32 a132, v42
	v_fma_f64 v[42:43], v[54:55], s[18:19], -v[42:43]
	v_accvgpr_write_b32 a146, v74
	v_mul_f64 v[74:75], v[64:65], s[42:43]
	v_accvgpr_write_b32 a154, v72
	v_fma_f64 v[72:73], s[24:25], v[66:67], v[72:73]
	v_add_f64 v[42:43], v[2:3], v[42:43]
	v_mul_f64 v[44:45], v[26:27], s[26:27]
	v_add_f64 v[40:41], v[72:73], v[40:41]
	v_fma_f64 v[72:73], v[68:69], s[24:25], -v[74:75]
	v_mul_f64 v[46:47], v[24:25], s[26:27]
	v_accvgpr_write_b32 a135, v45
	v_add_f64 v[42:43], v[72:73], v[42:43]
	v_mul_f64 v[72:73], v[70:71], s[56:57]
	v_accvgpr_write_b32 a134, v44
	v_fma_f64 v[44:45], s[16:17], v[52:53], v[44:45]
	v_accvgpr_write_b32 a137, v47
	v_accvgpr_write_b32 a161, v75
	v_accvgpr_write_b32 a163, v73
	v_add_f64 v[44:45], v[0:1], v[44:45]
	v_accvgpr_write_b32 a136, v46
	v_fma_f64 v[46:47], v[54:55], s[16:17], -v[46:47]
	v_accvgpr_write_b32 a160, v74
	v_mul_f64 v[74:75], v[64:65], s[56:57]
	v_accvgpr_write_b32 a162, v72
	v_fma_f64 v[72:73], s[22:23], v[66:67], v[72:73]
	v_add_f64 v[46:47], v[2:3], v[46:47]
	v_mul_f64 v[48:49], v[26:27], s[28:29]
	v_add_f64 v[44:45], v[72:73], v[44:45]
	v_fma_f64 v[72:73], v[68:69], s[22:23], -v[74:75]
	v_mul_f64 v[50:51], v[24:25], s[28:29]
	v_accvgpr_write_b32 a141, v49
	v_add_f64 v[46:47], v[72:73], v[46:47]
	v_mul_f64 v[72:73], v[70:71], s[52:53]
	v_accvgpr_write_b32 a140, v48
	v_fma_f64 v[48:49], s[20:21], v[52:53], v[48:49]
	v_accvgpr_write_b32 a145, v51
	v_accvgpr_write_b32 a165, v75
	v_accvgpr_write_b32 a169, v73
	v_add_f64 v[48:49], v[0:1], v[48:49]
	v_accvgpr_write_b32 a144, v50
	v_fma_f64 v[50:51], v[54:55], s[20:21], -v[50:51]
	v_accvgpr_write_b32 a164, v74
	v_mul_f64 v[74:75], v[64:65], s[52:53]
	v_accvgpr_write_b32 a168, v72
	v_fma_f64 v[72:73], s[16:17], v[66:67], v[72:73]
	v_add_f64 v[50:51], v[2:3], v[50:51]
	v_mul_f64 v[56:57], v[26:27], s[36:37]
	v_add_f64 v[48:49], v[72:73], v[48:49]
	v_fma_f64 v[72:73], v[68:69], s[16:17], -v[74:75]
	v_mul_f64 v[58:59], v[24:25], s[36:37]
	v_accvgpr_write_b32 a151, v57
	v_add_f64 v[50:51], v[72:73], v[50:51]
	v_mul_f64 v[72:73], v[70:71], s[30:31]
	v_accvgpr_write_b32 a150, v56
	v_fma_f64 v[56:57], s[22:23], v[52:53], v[56:57]
	v_accvgpr_write_b32 a159, v59
	v_accvgpr_write_b32 a171, v75
	;; [unrolled: 1-line block ×3, first 2 shown]
	v_add_f64 v[56:57], v[0:1], v[56:57]
	v_accvgpr_write_b32 a158, v58
	v_fma_f64 v[58:59], v[54:55], s[22:23], -v[58:59]
	v_mul_f64 v[26:27], v[26:27], s[42:43]
	v_accvgpr_write_b32 a170, v74
	v_mul_f64 v[74:75], v[64:65], s[30:31]
	v_accvgpr_write_b32 a178, v72
	v_fma_f64 v[72:73], s[12:13], v[66:67], v[72:73]
	v_add_f64 v[58:59], v[2:3], v[58:59]
	v_fma_f64 v[60:61], v[52:53], s[24:25], -v[26:27]
	v_mul_f64 v[24:25], v[24:25], s[42:43]
	v_fmac_f64_e32 v[26:27], s[24:25], v[52:53]
	v_add_f64 v[56:57], v[72:73], v[56:57]
	v_fma_f64 v[72:73], v[68:69], s[12:13], -v[74:75]
	v_mul_f64 v[70:71], v[70:71], s[40:41]
	v_add_f64 v[60:61], v[0:1], v[60:61]
	v_fma_f64 v[62:63], s[24:25], v[54:55], v[24:25]
	v_add_f64 v[26:27], v[0:1], v[26:27]
	v_add_f64 v[58:59], v[72:73], v[58:59]
	v_fma_f64 v[72:73], v[66:67], s[8:9], -v[70:71]
	v_mul_f64 v[64:65], v[64:65], s[40:41]
	v_fmac_f64_e32 v[70:71], s[8:9], v[66:67]
	v_add_f64 v[62:63], v[2:3], v[62:63]
	v_fma_f64 v[24:25], v[54:55], s[24:25], -v[24:25]
	v_add_f64 v[60:61], v[72:73], v[60:61]
	v_fma_f64 v[72:73], s[8:9], v[68:69], v[64:65]
	v_add_f64 v[26:27], v[70:71], v[26:27]
	v_add_f64 v[70:71], v[14:15], -v[138:139]
	v_add_f64 v[24:25], v[2:3], v[24:25]
	v_add_f64 v[62:63], v[72:73], v[62:63]
	v_fma_f64 v[64:65], v[68:69], s[8:9], -v[64:65]
	v_mul_f64 v[72:73], v[70:71], s[50:51]
	v_accvgpr_write_b32 a187, v75
	v_add_f64 v[24:25], v[64:65], v[24:25]
	v_add_f64 v[88:89], v[12:13], v[136:137]
	v_add_f64 v[64:65], v[12:13], -v[136:137]
	v_accvgpr_write_b32 a143, v73
	v_accvgpr_write_b32 a186, v74
	v_add_f64 v[90:91], v[14:15], v[138:139]
	v_mul_f64 v[74:75], v[64:65], s[50:51]
	v_accvgpr_write_b32 a142, v72
	v_fma_f64 v[72:73], s[12:13], v[88:89], v[72:73]
	v_add_f64 v[28:29], v[72:73], v[28:29]
	v_fma_f64 v[72:73], v[90:91], s[12:13], -v[74:75]
	v_add_f64 v[30:31], v[72:73], v[30:31]
	v_mul_f64 v[72:73], v[70:71], s[28:29]
	v_accvgpr_write_b32 a149, v75
	v_accvgpr_write_b32 a153, v73
	v_accvgpr_write_b32 a148, v74
	v_mul_f64 v[74:75], v[64:65], s[28:29]
	v_accvgpr_write_b32 a152, v72
	v_fma_f64 v[72:73], s[20:21], v[88:89], v[72:73]
	v_add_f64 v[32:33], v[72:73], v[32:33]
	v_fma_f64 v[72:73], v[90:91], s[20:21], -v[74:75]
	v_add_f64 v[34:35], v[72:73], v[34:35]
	v_mul_f64 v[72:73], v[70:71], s[58:59]
	v_accvgpr_write_b32 a157, v75
	v_accvgpr_write_b32 a167, v73
	v_accvgpr_write_b32 a156, v74
	;; [unrolled: 10-line block ×6, first 2 shown]
	v_mul_f64 v[74:75], v[64:65], s[46:47]
	v_accvgpr_write_b32 a208, v72
	v_fma_f64 v[72:73], s[18:19], v[88:89], v[72:73]
	v_add_f64 v[56:57], v[72:73], v[56:57]
	v_fma_f64 v[72:73], v[90:91], s[18:19], -v[74:75]
	v_mul_f64 v[70:71], v[70:71], s[36:37]
	v_add_f64 v[58:59], v[72:73], v[58:59]
	v_fma_f64 v[72:73], v[88:89], s[22:23], -v[70:71]
	v_mul_f64 v[64:65], v[64:65], s[36:37]
	v_fmac_f64_e32 v[70:71], s[22:23], v[88:89]
	v_add_f64 v[60:61], v[72:73], v[60:61]
	v_fma_f64 v[72:73], s[22:23], v[90:91], v[64:65]
	v_add_f64 v[26:27], v[70:71], v[26:27]
	v_add_f64 v[70:71], v[18:19], -v[134:135]
	v_add_f64 v[62:63], v[72:73], v[62:63]
	v_fma_f64 v[64:65], v[90:91], s[22:23], -v[64:65]
	v_mul_f64 v[72:73], v[70:71], s[46:47]
	v_accvgpr_write_b32 a215, v75
	v_add_f64 v[24:25], v[64:65], v[24:25]
	v_add_f64 v[238:239], v[16:17], v[132:133]
	v_add_f64 v[64:65], v[16:17], -v[132:133]
	v_accvgpr_write_b32 a173, v73
	v_accvgpr_write_b32 a214, v74
	v_add_f64 v[240:241], v[18:19], v[134:135]
	v_mul_f64 v[74:75], v[64:65], s[46:47]
	v_accvgpr_write_b32 a172, v72
	v_fma_f64 v[72:73], s[18:19], v[238:239], v[72:73]
	v_add_f64 v[28:29], v[72:73], v[28:29]
	v_fma_f64 v[72:73], v[240:241], s[18:19], -v[74:75]
	v_add_f64 v[30:31], v[72:73], v[30:31]
	v_mul_f64 v[72:73], v[70:71], s[42:43]
	v_accvgpr_write_b32 a177, v75
	v_accvgpr_write_b32 a183, v73
	v_accvgpr_write_b32 a176, v74
	v_mul_f64 v[74:75], v[64:65], s[42:43]
	v_accvgpr_write_b32 a182, v72
	v_fma_f64 v[72:73], s[24:25], v[238:239], v[72:73]
	v_add_f64 v[32:33], v[72:73], v[32:33]
	v_fma_f64 v[72:73], v[240:241], s[24:25], -v[74:75]
	v_add_f64 v[34:35], v[72:73], v[34:35]
	v_mul_f64 v[72:73], v[70:71], s[52:53]
	v_accvgpr_write_b32 a189, v75
	v_accvgpr_write_b32 a197, v73
	v_accvgpr_write_b32 a188, v74
	;; [unrolled: 10-line block ×6, first 2 shown]
	v_mul_f64 v[74:75], v[64:65], s[54:55]
	v_accvgpr_write_b32 a236, v72
	v_fma_f64 v[72:73], s[20:21], v[238:239], v[72:73]
	v_add_f64 v[56:57], v[72:73], v[56:57]
	v_fma_f64 v[72:73], v[240:241], s[20:21], -v[74:75]
	v_add_f64 v[72:73], v[72:73], v[58:59]
	v_mul_f64 v[58:59], v[70:71], s[38:39]
	v_fma_f64 v[70:71], v[238:239], s[14:15], -v[58:59]
	v_add_f64 v[70:71], v[70:71], v[60:61]
	v_mul_f64 v[60:61], v[64:65], s[38:39]
	v_fma_f64 v[64:65], s[14:15], v[240:241], v[60:61]
	v_fmac_f64_e32 v[58:59], s[14:15], v[238:239]
	v_accvgpr_write_b32 a243, v75
	v_add_f64 v[62:63], v[64:65], v[62:63]
	v_add_f64 v[64:65], v[58:59], v[26:27]
	v_fma_f64 v[26:27], v[240:241], s[14:15], -v[60:61]
	v_add_f64 v[78:79], v[22:23], -v[130:131]
	v_accvgpr_write_b32 a242, v74
	v_add_f64 v[74:75], v[26:27], v[24:25]
	v_mul_f64 v[24:25], v[78:79], s[26:27]
	v_add_f64 v[58:59], v[20:21], v[128:129]
	v_add_f64 v[76:77], v[20:21], -v[128:129]
	v_accvgpr_write_b32 a203, v25
	v_add_f64 v[60:61], v[22:23], v[130:131]
	v_mul_f64 v[26:27], v[76:77], s[26:27]
	v_accvgpr_write_b32 a202, v24
	v_fma_f64 v[24:25], s[16:17], v[58:59], v[24:25]
	v_add_f64 v[28:29], v[24:25], v[28:29]
	v_fma_f64 v[24:25], v[60:61], s[16:17], -v[26:27]
	v_add_f64 v[30:31], v[24:25], v[30:31]
	v_mul_f64 v[24:25], v[78:79], s[56:57]
	v_accvgpr_write_b32 a207, v27
	v_accvgpr_write_b32 a211, v25
	v_accvgpr_write_b32 a206, v26
	v_mul_f64 v[26:27], v[76:77], s[56:57]
	v_accvgpr_write_b32 a210, v24
	v_fma_f64 v[24:25], s[22:23], v[58:59], v[24:25]
	v_add_f64 v[32:33], v[24:25], v[32:33]
	v_fma_f64 v[24:25], v[60:61], s[22:23], -v[26:27]
	v_add_f64 v[34:35], v[24:25], v[34:35]
	v_mul_f64 v[24:25], v[78:79], s[38:39]
	v_accvgpr_write_b32 a217, v27
	v_accvgpr_write_b32 a225, v25
	v_accvgpr_write_b32 a216, v26
	;; [unrolled: 10-line block ×5, first 2 shown]
	v_mul_f64 v[26:27], v[76:77], s[34:35]
	v_accvgpr_write_b32 a254, v24
	v_fma_f64 v[24:25], s[18:19], v[58:59], v[24:25]
	v_add_f64 v[48:49], v[24:25], v[48:49]
	v_fma_f64 v[24:25], v[60:61], s[18:19], -v[26:27]
	v_accvgpr_write_b32 a0, v26
	v_add_f64 v[50:51], v[24:25], v[50:51]
	v_mul_f64 v[24:25], v[78:79], s[44:45]
	v_accvgpr_write_b32 a1, v27
	v_mul_f64 v[26:27], v[76:77], s[44:45]
	v_fma_f64 v[80:81], s[8:9], v[58:59], v[24:25]
	v_add_f64 v[56:57], v[80:81], v[56:57]
	v_fma_f64 v[80:81], v[60:61], s[8:9], -v[26:27]
	v_mul_f64 v[78:79], v[78:79], s[28:29]
	v_add_f64 v[72:73], v[80:81], v[72:73]
	v_fma_f64 v[80:81], v[58:59], s[20:21], -v[78:79]
	v_mul_f64 v[76:77], v[76:77], s[28:29]
	v_fmac_f64_e32 v[78:79], s[20:21], v[58:59]
	v_accvgpr_write_b32 a55, v25
	v_add_f64 v[70:71], v[80:81], v[70:71]
	v_fma_f64 v[80:81], s[20:21], v[60:61], v[76:77]
	v_add_f64 v[64:65], v[78:79], v[64:65]
	v_fma_f64 v[76:77], v[60:61], s[20:21], -v[76:77]
	v_add_f64 v[78:79], v[106:107], -v[126:127]
	v_accvgpr_write_b32 a54, v24
	v_add_f64 v[74:75], v[76:77], v[74:75]
	v_add_f64 v[82:83], v[104:105], v[124:125]
	v_add_f64 v[76:77], v[104:105], -v[124:125]
	v_mul_f64 v[24:25], v[78:79], s[28:29]
	v_add_f64 v[62:63], v[80:81], v[62:63]
	v_add_f64 v[84:85], v[106:107], v[126:127]
	v_mul_f64 v[86:87], v[76:77], s[28:29]
	v_accvgpr_write_b32 a231, v25
	v_fma_f64 v[80:81], s[20:21], v[82:83], v[24:25]
	v_accvgpr_write_b32 a230, v24
	v_add_f64 v[28:29], v[80:81], v[28:29]
	v_accvgpr_write_b32 a235, v87
	v_fma_f64 v[80:81], v[84:85], s[20:21], -v[86:87]
	v_mul_f64 v[24:25], v[78:79], s[52:53]
	v_accvgpr_write_b32 a234, v86
	v_add_f64 v[30:31], v[80:81], v[30:31]
	v_mul_f64 v[86:87], v[76:77], s[52:53]
	v_accvgpr_write_b32 a239, v25
	v_fma_f64 v[80:81], s[16:17], v[82:83], v[24:25]
	v_accvgpr_write_b32 a238, v24
	v_add_f64 v[32:33], v[80:81], v[32:33]
	v_accvgpr_write_b32 a245, v87
	v_fma_f64 v[80:81], v[84:85], s[16:17], -v[86:87]
	v_mul_f64 v[24:25], v[78:79], s[44:45]
	v_accvgpr_write_b32 a244, v86
	v_add_f64 v[34:35], v[80:81], v[34:35]
	v_mul_f64 v[86:87], v[76:77], s[44:45]
	v_accvgpr_write_b32 a253, v25
	v_fma_f64 v[80:81], s[8:9], v[82:83], v[24:25]
	v_accvgpr_write_b32 a252, v24
	v_add_f64 v[36:37], v[80:81], v[36:37]
	v_fma_f64 v[80:81], v[84:85], s[8:9], -v[86:87]
	v_mul_f64 v[24:25], v[78:79], s[36:37]
	v_add_f64 v[38:39], v[80:81], v[38:39]
	v_mul_f64 v[228:229], v[76:77], s[36:37]
	v_fma_f64 v[80:81], s[22:23], v[82:83], v[24:25]
	v_accvgpr_write_b32 a66, v86
	v_add_f64 v[80:81], v[80:81], v[40:41]
	v_fma_f64 v[40:41], v[84:85], s[22:23], -v[228:229]
	v_mul_f64 v[234:235], v[78:79], s[34:35]
	v_accvgpr_write_b32 a67, v87
	v_add_f64 v[86:87], v[40:41], v[42:43]
	v_mul_f64 v[236:237], v[76:77], s[34:35]
	v_fma_f64 v[40:41], s[18:19], v[82:83], v[234:235]
	v_add_f64 v[44:45], v[40:41], v[44:45]
	v_fma_f64 v[40:41], v[84:85], s[18:19], -v[236:237]
	v_mul_f64 v[244:245], v[78:79], s[48:49]
	v_add_f64 v[46:47], v[40:41], v[46:47]
	v_mul_f64 v[246:247], v[76:77], s[48:49]
	v_fma_f64 v[40:41], s[14:15], v[82:83], v[244:245]
	v_add_f64 v[92:93], v[40:41], v[48:49]
	v_fma_f64 v[40:41], v[84:85], s[14:15], -v[246:247]
	v_mul_f64 v[254:255], v[78:79], s[42:43]
	v_add_f64 v[98:99], v[40:41], v[50:51]
	v_mul_f64 v[42:43], v[76:77], s[42:43]
	v_fma_f64 v[40:41], s[24:25], v[82:83], v[254:255]
	v_add_f64 v[100:101], v[40:41], v[56:57]
	v_fma_f64 v[40:41], v[84:85], s[24:25], -v[42:43]
	v_add_f64 v[72:73], v[40:41], v[72:73]
	v_mul_f64 v[40:41], v[78:79], s[30:31]
	v_fma_f64 v[48:49], v[82:83], s[12:13], -v[40:41]
	v_accvgpr_write_b32 a47, v25
	v_add_f64 v[102:103], v[48:49], v[70:71]
	v_mul_f64 v[48:49], v[76:77], s[30:31]
	v_fmac_f64_e32 v[40:41], s[12:13], v[82:83]
	v_accvgpr_write_b32 a46, v24
	v_add_f64 v[248:249], v[40:41], v[64:65]
	v_fma_f64 v[40:41], v[84:85], s[12:13], -v[48:49]
	v_add_f64 v[24:25], v[110:111], -v[122:123]
	v_add_f64 v[250:251], v[40:41], v[74:75]
	v_mul_f64 v[40:41], v[24:25], s[36:37]
	v_add_f64 v[230:231], v[108:109], v[120:121]
	v_add_f64 v[220:221], v[108:109], -v[120:121]
	v_accvgpr_write_b32 a65, v41
	v_fma_f64 v[50:51], s[12:13], v[84:85], v[48:49]
	v_add_f64 v[232:233], v[110:111], v[122:123]
	v_mul_f64 v[48:49], v[220:221], s[36:37]
	v_accvgpr_write_b32 a64, v40
	v_fma_f64 v[40:41], s[22:23], v[230:231], v[40:41]
	v_add_f64 v[222:223], v[40:41], v[28:29]
	v_fma_f64 v[28:29], v[232:233], s[22:23], -v[48:49]
	v_add_f64 v[224:225], v[28:29], v[30:31]
	v_mul_f64 v[28:29], v[24:25], s[30:31]
	v_accvgpr_write_b32 a45, v29
	v_mul_f64 v[226:227], v[220:221], s[30:31]
	v_accvgpr_write_b32 a44, v28
	v_fma_f64 v[28:29], s[12:13], v[230:231], v[28:29]
	v_add_f64 v[70:71], v[28:29], v[32:33]
	v_fma_f64 v[28:29], v[232:233], s[12:13], -v[226:227]
	v_mul_f64 v[242:243], v[24:25], s[46:47]
	v_add_f64 v[64:65], v[28:29], v[34:35]
	v_mul_f64 v[252:253], v[220:221], s[46:47]
	v_fma_f64 v[28:29], s[18:19], v[230:231], v[242:243]
	v_accvgpr_write_b32 a53, v49
	v_add_f64 v[76:77], v[28:29], v[36:37]
	v_fma_f64 v[28:29], v[232:233], s[18:19], -v[252:253]
	v_mul_f64 v[40:41], v[24:25], s[54:55]
	v_accvgpr_write_b32 a52, v48
	v_add_f64 v[74:75], v[28:29], v[38:39]
	v_mul_f64 v[48:49], v[220:221], s[54:55]
	v_fma_f64 v[28:29], s[20:21], v[230:231], v[40:41]
	v_add_f64 v[62:63], v[50:51], v[62:63]
	v_add_f64 v[216:217], v[28:29], v[80:81]
	v_fma_f64 v[28:29], v[232:233], s[20:21], -v[48:49]
	v_mul_f64 v[50:51], v[24:25], s[44:45]
	v_add_f64 v[94:95], v[28:29], v[86:87]
	v_mul_f64 v[56:57], v[220:221], s[44:45]
	v_fma_f64 v[28:29], s[8:9], v[230:231], v[50:51]
	v_add_f64 v[218:219], v[28:29], v[44:45]
	v_fma_f64 v[28:29], v[232:233], s[8:9], -v[56:57]
	v_mul_f64 v[36:37], v[24:25], s[42:43]
	v_add_f64 v[96:97], v[28:29], v[46:47]
	v_mul_f64 v[150:151], v[220:221], s[42:43]
	v_fma_f64 v[28:29], s[24:25], v[230:231], v[36:37]
	;; [unrolled: 6-line block ×3, first 2 shown]
	v_mul_f64 v[24:25], v[24:25], s[26:27]
	v_add_f64 v[78:79], v[28:29], v[100:101]
	v_fma_f64 v[28:29], v[232:233], s[14:15], -v[32:33]
	v_fma_f64 v[34:35], v[230:231], s[16:17], -v[24:25]
	v_mul_f64 v[44:45], v[220:221], s[26:27]
	v_fmac_f64_e32 v[24:25], s[16:17], v[230:231]
	v_add_f64 v[86:87], v[114:115], -v[118:119]
	v_add_f64 v[28:29], v[28:29], v[72:73]
	v_add_f64 v[72:73], v[34:35], v[102:103]
	v_fma_f64 v[34:35], s[16:17], v[232:233], v[44:45]
	v_add_f64 v[100:101], v[24:25], v[248:249]
	v_fma_f64 v[24:25], v[232:233], s[16:17], -v[44:45]
	v_add_f64 v[44:45], v[112:113], v[116:117]
	v_add_f64 v[80:81], v[112:113], -v[116:117]
	v_mul_f64 v[248:249], v[86:87], s[42:43]
	v_add_f64 v[102:103], v[24:25], v[250:251]
	v_add_f64 v[46:47], v[114:115], v[118:119]
	v_mul_f64 v[250:251], v[80:81], s[42:43]
	v_fma_f64 v[24:25], s[24:25], v[44:45], v[248:249]
	v_add_f64 v[34:35], v[34:35], v[62:63]
	v_add_f64 v[220:221], v[24:25], v[222:223]
	v_fma_f64 v[24:25], v[46:47], s[24:25], -v[250:251]
	v_mul_f64 v[62:63], v[86:87], s[40:41]
	v_add_f64 v[222:223], v[24:25], v[224:225]
	v_accvgpr_write_b32 a72, v220
	v_mul_f64 v[92:93], v[80:81], s[40:41]
	v_fma_f64 v[24:25], s[8:9], v[44:45], v[62:63]
	v_accvgpr_write_b32 a73, v221
	v_accvgpr_write_b32 a74, v222
	v_accvgpr_write_b32 a75, v223
	v_add_f64 v[220:221], v[24:25], v[70:71]
	v_fma_f64 v[24:25], v[46:47], s[8:9], -v[92:93]
	v_add_f64 v[222:223], v[24:25], v[64:65]
	v_mul_f64 v[64:65], v[86:87], s[36:37]
	v_accvgpr_write_b32 a76, v220
	v_mul_f64 v[70:71], v[80:81], s[36:37]
	v_fma_f64 v[24:25], s[22:23], v[44:45], v[64:65]
	v_accvgpr_write_b32 a77, v221
	v_accvgpr_write_b32 a78, v222
	v_accvgpr_write_b32 a79, v223
	v_add_f64 v[220:221], v[24:25], v[76:77]
	v_fma_f64 v[24:25], v[46:47], s[22:23], -v[70:71]
	v_add_f64 v[222:223], v[24:25], v[74:75]
	v_mul_f64 v[74:75], v[86:87], s[38:39]
	v_accvgpr_write_b32 a80, v220
	v_mul_f64 v[76:77], v[80:81], s[38:39]
	v_fma_f64 v[24:25], s[14:15], v[44:45], v[74:75]
	v_accvgpr_write_b32 a81, v221
	v_accvgpr_write_b32 a82, v222
	v_accvgpr_write_b32 a83, v223
	v_add_f64 v[220:221], v[24:25], v[216:217]
	v_fma_f64 v[24:25], v[46:47], s[14:15], -v[76:77]
	v_add_f64 v[222:223], v[24:25], v[94:95]
	v_mul_f64 v[94:95], v[86:87], s[28:29]
	v_mul_f64 v[216:217], v[80:81], s[28:29]
	v_fma_f64 v[24:25], s[20:21], v[44:45], v[94:95]
	v_accvgpr_write_b32 a84, v220
	v_add_f64 v[218:219], v[24:25], v[218:219]
	v_fma_f64 v[24:25], v[46:47], s[20:21], -v[216:217]
	v_accvgpr_write_b32 a85, v221
	v_accvgpr_write_b32 a86, v222
	;; [unrolled: 1-line block ×3, first 2 shown]
	v_add_f64 v[220:221], v[24:25], v[96:97]
	v_accvgpr_write_b32 a88, v218
	v_mul_f64 v[96:97], v[86:87], s[30:31]
	v_accvgpr_write_b32 a89, v219
	v_accvgpr_write_b32 a90, v220
	;; [unrolled: 1-line block ×3, first 2 shown]
	v_mul_f64 v[218:219], v[80:81], s[30:31]
	v_fma_f64 v[24:25], s[12:13], v[44:45], v[96:97]
	v_add_f64 v[220:221], v[24:25], v[30:31]
	v_fma_f64 v[24:25], v[46:47], s[12:13], -v[218:219]
	v_mul_f64 v[30:31], v[86:87], s[26:27]
	v_add_f64 v[222:223], v[24:25], v[98:99]
	v_accvgpr_write_b32 a92, v220
	v_mul_f64 v[98:99], v[80:81], s[26:27]
	v_fma_f64 v[24:25], s[16:17], v[44:45], v[30:31]
	v_accvgpr_write_b32 a93, v221
	v_accvgpr_write_b32 a94, v222
	;; [unrolled: 1-line block ×3, first 2 shown]
	v_add_f64 v[222:223], v[24:25], v[78:79]
	v_fma_f64 v[24:25], v[46:47], s[16:17], -v[98:99]
	v_add_f64 v[224:225], v[24:25], v[28:29]
	v_mul_f64 v[24:25], v[86:87], s[34:35]
	v_fma_f64 v[28:29], v[44:45], s[18:19], -v[24:25]
	v_add_f64 v[78:79], v[28:29], v[72:73]
	v_mul_f64 v[28:29], v[80:81], s[34:35]
	v_fma_f64 v[72:73], s[18:19], v[46:47], v[28:29]
	v_add_f64 v[80:81], v[72:73], v[34:35]
	v_accvgpr_write_b32 a99, v81
	v_fmac_f64_e32 v[24:25], s[18:19], v[44:45]
	v_accvgpr_write_b32 a98, v80
	v_accvgpr_write_b32 a97, v79
	;; [unrolled: 1-line block ×3, first 2 shown]
	v_add_f64 v[78:79], v[24:25], v[100:101]
	v_fma_f64 v[24:25], v[46:47], s[18:19], -v[28:29]
	v_add_f64 v[80:81], v[24:25], v[102:103]
	v_accvgpr_read_b32 v24, a180
	v_accvgpr_read_b32 v25, a181
	v_mul_lo_u16_e32 v24, 17, v24
	v_mov_b32_e32 v25, v149
	v_lshl_add_u32 v149, v24, 4, v25
	v_accvgpr_write_b32 a103, v81
	s_waitcnt lgkmcnt(0)
	; wave barrier
	v_accvgpr_read_b32 v221, a181
	ds_write_b128 v149, a[106:109]
	ds_write_b128 v149, v[164:167] offset:16
	ds_write_b128 v149, v[172:175] offset:32
	;; [unrolled: 1-line block ×15, first 2 shown]
	v_accvgpr_read_b32 v158, a104
	v_accvgpr_write_b32 a102, v80
	v_accvgpr_write_b32 a101, v79
	;; [unrolled: 1-line block ×3, first 2 shown]
	v_accvgpr_read_b32 v220, a180
	v_mov_b32_e32 v160, v25
	v_mul_u32_u24_e32 v161, 17, v158
	ds_write_b128 v149, v[152:155] offset:256
	s_and_saveexec_b64 s[26:27], vcc
	s_cbranch_execz .LBB0_7
; %bb.6:
	v_mul_f64 v[28:29], v[232:233], s[14:15]
	v_add_f64 v[28:29], v[32:33], v[28:29]
	v_mul_f64 v[32:33], v[84:85], s[24:25]
	v_add_f64 v[32:33], v[42:43], v[32:33]
	v_mul_f64 v[34:35], v[60:61], s[8:9]
	v_accvgpr_read_b32 v42, a242
	v_add_f64 v[26:27], v[26:27], v[34:35]
	v_mul_f64 v[34:35], v[240:241], s[20:21]
	v_accvgpr_read_b32 v43, a243
	v_accvgpr_read_b32 v72, a214
	v_add_f64 v[34:35], v[42:43], v[34:35]
	v_mul_f64 v[42:43], v[90:91], s[18:19]
	v_accvgpr_read_b32 v73, a215
	;; [unrolled: 4-line block ×4, first 2 shown]
	v_add_f64 v[78:79], v[80:81], v[78:79]
	v_add_f64 v[78:79], v[2:3], v[78:79]
	v_add_f64 v[72:73], v[72:73], v[78:79]
	v_add_f64 v[42:43], v[42:43], v[72:73]
	v_add_f64 v[34:35], v[34:35], v[42:43]
	v_add_f64 v[26:27], v[26:27], v[34:35]
	v_add_f64 v[26:27], v[32:33], v[26:27]
	v_add_f64 v[26:27], v[28:29], v[26:27]
	v_mul_f64 v[28:29], v[44:45], s[16:17]
	v_add_f64 v[28:29], v[28:29], -v[30:31]
	v_mul_f64 v[30:31], v[230:231], s[14:15]
	v_add_f64 v[30:31], v[30:31], -v[38:39]
	v_accvgpr_read_b32 v38, a54
	v_mul_f64 v[34:35], v[58:59], s[8:9]
	v_accvgpr_read_b32 v39, a55
	v_accvgpr_read_b32 v42, a236
	v_add_f64 v[34:35], v[34:35], -v[38:39]
	v_mul_f64 v[38:39], v[238:239], s[20:21]
	v_accvgpr_read_b32 v43, a237
	v_accvgpr_read_b32 v72, a208
	v_add_f64 v[38:39], v[38:39], -v[42:43]
	;; [unrolled: 4-line block ×4, first 2 shown]
	v_mul_f64 v[78:79], v[52:53], s[22:23]
	v_accvgpr_read_b32 v81, a151
	v_add_f64 v[78:79], v[78:79], -v[80:81]
	v_add_f64 v[78:79], v[0:1], v[78:79]
	v_add_f64 v[72:73], v[72:73], v[78:79]
	;; [unrolled: 1-line block ×3, first 2 shown]
	v_mul_f64 v[32:33], v[82:83], s[24:25]
	v_add_f64 v[38:39], v[38:39], v[42:43]
	v_add_f64 v[32:33], v[32:33], -v[254:255]
	v_add_f64 v[34:35], v[34:35], v[38:39]
	v_accvgpr_read_b32 v39, a1
	v_add_f64 v[32:33], v[32:33], v[34:35]
	v_mul_f64 v[34:35], v[60:61], s[18:19]
	v_accvgpr_read_b32 v38, a0
	v_accvgpr_read_b32 v42, a228
	v_add_f64 v[34:35], v[38:39], v[34:35]
	v_mul_f64 v[38:39], v[240:241], s[22:23]
	v_accvgpr_read_b32 v43, a229
	;; [unrolled: 4-line block ×5, first 2 shown]
	v_add_f64 v[78:79], v[80:81], v[78:79]
	v_add_f64 v[78:79], v[2:3], v[78:79]
	;; [unrolled: 1-line block ×5, first 2 shown]
	v_accvgpr_read_b32 v42, a254
	v_add_f64 v[34:35], v[34:35], v[38:39]
	v_mul_f64 v[38:39], v[58:59], s[18:19]
	v_accvgpr_read_b32 v43, a255
	v_accvgpr_read_b32 v72, a226
	v_add_f64 v[38:39], v[38:39], -v[42:43]
	v_mul_f64 v[42:43], v[238:239], s[22:23]
	v_accvgpr_read_b32 v73, a227
	v_accvgpr_read_b32 v78, a198
	v_add_f64 v[42:43], v[42:43], -v[72:73]
	;; [unrolled: 4-line block ×4, first 2 shown]
	v_mul_f64 v[80:81], v[52:53], s[20:21]
	v_accvgpr_read_b32 v87, a141
	v_add_f64 v[80:81], v[80:81], -v[86:87]
	v_add_f64 v[30:31], v[30:31], v[32:33]
	v_mul_f64 v[32:33], v[84:85], s[14:15]
	v_add_f64 v[80:81], v[0:1], v[80:81]
	v_mul_f64 v[24:25], v[46:47], s[16:17]
	v_add_f64 v[32:33], v[246:247], v[32:33]
	v_add_f64 v[78:79], v[78:79], v[80:81]
	;; [unrolled: 1-line block ×4, first 2 shown]
	v_mul_f64 v[34:35], v[230:231], s[24:25]
	v_add_f64 v[72:73], v[72:73], v[78:79]
	v_add_f64 v[26:27], v[24:25], v[26:27]
	;; [unrolled: 1-line block ×3, first 2 shown]
	v_mul_f64 v[30:31], v[232:233], s[24:25]
	v_add_f64 v[34:35], v[34:35], -v[36:37]
	v_mul_f64 v[36:37], v[82:83], s[14:15]
	v_add_f64 v[42:43], v[42:43], v[72:73]
	v_add_f64 v[30:31], v[150:151], v[30:31]
	v_add_f64 v[36:37], v[36:37], -v[244:245]
	v_add_f64 v[38:39], v[38:39], v[42:43]
	v_mul_f64 v[28:29], v[46:47], s[12:13]
	v_add_f64 v[30:31], v[30:31], v[32:33]
	v_mul_f64 v[32:33], v[44:45], s[12:13]
	v_add_f64 v[36:37], v[36:37], v[38:39]
	v_add_f64 v[28:29], v[218:219], v[28:29]
	v_add_f64 v[32:33], v[32:33], -v[96:97]
	v_add_f64 v[34:35], v[34:35], v[36:37]
	v_add_f64 v[30:31], v[28:29], v[30:31]
	;; [unrolled: 1-line block ×3, first 2 shown]
	v_mul_f64 v[34:35], v[232:233], s[8:9]
	v_accvgpr_read_b32 v42, a250
	v_add_f64 v[34:35], v[56:57], v[34:35]
	v_mul_f64 v[38:39], v[60:61], s[24:25]
	v_accvgpr_read_b32 v43, a251
	v_accvgpr_read_b32 v56, a222
	v_add_f64 v[38:39], v[42:43], v[38:39]
	v_mul_f64 v[42:43], v[240:241], s[12:13]
	v_accvgpr_read_b32 v57, a223
	;; [unrolled: 4-line block ×5, first 2 shown]
	v_add_f64 v[78:79], v[80:81], v[78:79]
	v_add_f64 v[78:79], v[2:3], v[78:79]
	;; [unrolled: 1-line block ×4, first 2 shown]
	v_mul_f64 v[36:37], v[84:85], s[18:19]
	v_add_f64 v[42:43], v[42:43], v[56:57]
	v_add_f64 v[36:37], v[236:237], v[36:37]
	;; [unrolled: 1-line block ×4, first 2 shown]
	v_mul_f64 v[38:39], v[230:231], s[8:9]
	v_accvgpr_read_b32 v56, a248
	v_add_f64 v[38:39], v[38:39], -v[50:51]
	v_mul_f64 v[50:51], v[58:59], s[24:25]
	v_accvgpr_read_b32 v57, a249
	v_accvgpr_read_b32 v72, a220
	v_add_f64 v[50:51], v[50:51], -v[56:57]
	v_mul_f64 v[56:57], v[238:239], s[12:13]
	v_accvgpr_read_b32 v73, a221
	;; [unrolled: 4-line block ×5, first 2 shown]
	v_add_f64 v[80:81], v[80:81], -v[86:87]
	v_add_f64 v[80:81], v[0:1], v[80:81]
	v_add_f64 v[78:79], v[78:79], v[80:81]
	;; [unrolled: 1-line block ×3, first 2 shown]
	v_mul_f64 v[42:43], v[82:83], s[18:19]
	v_add_f64 v[56:57], v[56:57], v[72:73]
	v_add_f64 v[42:43], v[42:43], -v[234:235]
	v_add_f64 v[50:51], v[50:51], v[56:57]
	v_mul_f64 v[32:33], v[46:47], s[20:21]
	v_add_f64 v[34:35], v[34:35], v[36:37]
	v_mul_f64 v[36:37], v[44:45], s[20:21]
	v_add_f64 v[42:43], v[42:43], v[50:51]
	v_add_f64 v[32:33], v[216:217], v[32:33]
	v_add_f64 v[36:37], v[36:37], -v[94:95]
	v_add_f64 v[38:39], v[38:39], v[42:43]
	v_add_f64 v[34:35], v[32:33], v[34:35]
	;; [unrolled: 1-line block ×3, first 2 shown]
	v_mul_f64 v[38:39], v[232:233], s[20:21]
	v_accvgpr_read_b32 v50, a246
	v_add_f64 v[38:39], v[48:49], v[38:39]
	v_mul_f64 v[48:49], v[60:61], s[12:13]
	v_accvgpr_read_b32 v51, a247
	v_accvgpr_read_b32 v56, a218
	v_mul_f64 v[36:37], v[46:47], s[14:15]
	v_add_f64 v[48:49], v[50:51], v[48:49]
	v_mul_f64 v[50:51], v[240:241], s[8:9]
	v_accvgpr_read_b32 v57, a219
	v_accvgpr_read_b32 v72, a190
	v_add_f64 v[36:37], v[76:77], v[36:37]
	v_add_f64 v[50:51], v[56:57], v[50:51]
	v_mul_f64 v[56:57], v[90:91], s[16:17]
	v_accvgpr_read_b32 v73, a191
	v_accvgpr_read_b32 v76, a160
	v_add_f64 v[56:57], v[72:73], v[56:57]
	v_mul_f64 v[72:73], v[68:69], s[24:25]
	v_accvgpr_read_b32 v77, a161
	v_accvgpr_read_b32 v78, a132
	v_add_f64 v[72:73], v[76:77], v[72:73]
	v_mul_f64 v[76:77], v[54:55], s[18:19]
	v_accvgpr_read_b32 v79, a133
	v_add_f64 v[76:77], v[78:79], v[76:77]
	v_add_f64 v[76:77], v[2:3], v[76:77]
	;; [unrolled: 1-line block ×4, first 2 shown]
	v_mul_f64 v[42:43], v[84:85], s[22:23]
	v_add_f64 v[50:51], v[50:51], v[56:57]
	v_add_f64 v[42:43], v[228:229], v[42:43]
	;; [unrolled: 1-line block ×4, first 2 shown]
	v_mul_f64 v[48:49], v[230:231], s[20:21]
	v_accvgpr_read_b32 v51, a47
	v_add_f64 v[40:41], v[48:49], -v[40:41]
	v_mul_f64 v[48:49], v[82:83], s[22:23]
	v_accvgpr_read_b32 v50, a46
	v_accvgpr_read_b32 v56, a240
	v_add_f64 v[38:39], v[38:39], v[42:43]
	v_mul_f64 v[42:43], v[44:45], s[14:15]
	v_add_f64 v[48:49], v[48:49], -v[50:51]
	v_mul_f64 v[50:51], v[58:59], s[12:13]
	v_accvgpr_read_b32 v57, a241
	v_accvgpr_read_b32 v72, a212
	v_add_f64 v[42:43], v[42:43], -v[74:75]
	v_add_f64 v[50:51], v[50:51], -v[56:57]
	v_mul_f64 v[56:57], v[238:239], s[8:9]
	v_accvgpr_read_b32 v73, a213
	v_accvgpr_read_b32 v74, a184
	v_add_f64 v[56:57], v[56:57], -v[72:73]
	v_mul_f64 v[72:73], v[88:89], s[16:17]
	v_accvgpr_read_b32 v75, a185
	v_accvgpr_read_b32 v76, a154
	;; [unrolled: 4-line block ×3, first 2 shown]
	v_add_f64 v[74:75], v[74:75], -v[76:77]
	v_mul_f64 v[76:77], v[52:53], s[18:19]
	v_accvgpr_read_b32 v79, a129
	v_add_f64 v[76:77], v[76:77], -v[78:79]
	v_add_f64 v[76:77], v[0:1], v[76:77]
	v_add_f64 v[74:75], v[74:75], v[76:77]
	;; [unrolled: 1-line block ×7, first 2 shown]
	v_accvgpr_read_b32 v50, a66
	v_add_f64 v[38:39], v[36:37], v[38:39]
	v_add_f64 v[36:37], v[42:43], v[40:41]
	v_mul_f64 v[40:41], v[46:47], s[22:23]
	v_mul_f64 v[48:49], v[84:85], s[8:9]
	v_accvgpr_read_b32 v51, a67
	v_accvgpr_read_b32 v56, a232
	v_add_f64 v[40:41], v[70:71], v[40:41]
	v_add_f64 v[48:49], v[50:51], v[48:49]
	v_mul_f64 v[50:51], v[60:61], s[14:15]
	v_accvgpr_read_b32 v57, a233
	v_accvgpr_read_b32 v70, a204
	v_add_f64 v[50:51], v[56:57], v[50:51]
	v_mul_f64 v[56:57], v[240:241], s[16:17]
	v_accvgpr_read_b32 v71, a205
	v_accvgpr_read_b32 v72, a174
	;; [unrolled: 4-line block ×4, first 2 shown]
	v_add_f64 v[72:73], v[74:75], v[72:73]
	v_mul_f64 v[74:75], v[54:55], s[12:13]
	v_accvgpr_read_b32 v77, a125
	v_add_f64 v[74:75], v[76:77], v[74:75]
	v_add_f64 v[74:75], v[2:3], v[74:75]
	;; [unrolled: 1-line block ×4, first 2 shown]
	v_accvgpr_read_b32 v80, a252
	v_add_f64 v[56:57], v[56:57], v[70:71]
	v_mul_f64 v[78:79], v[82:83], s[8:9]
	v_accvgpr_read_b32 v81, a253
	v_accvgpr_read_b32 v86, a224
	;; [unrolled: 1-line block ×3, first 2 shown]
	v_mul_f64 v[76:77], v[52:53], s[8:9]
	v_mul_f64 v[72:73], v[52:53], s[14:15]
	;; [unrolled: 1-line block ×3, first 2 shown]
	v_add_f64 v[50:51], v[50:51], v[56:57]
	v_add_f64 v[78:79], v[78:79], -v[80:81]
	v_mul_f64 v[80:81], v[58:59], s[14:15]
	v_accvgpr_read_b32 v87, a225
	v_accvgpr_read_b32 v94, a196
	;; [unrolled: 1-line block ×4, first 2 shown]
	v_mul_f64 v[70:71], v[66:67], s[14:15]
	v_add_f64 v[48:49], v[48:49], v[50:51]
	v_mul_f64 v[50:51], v[66:67], s[18:19]
	v_mul_f64 v[66:67], v[66:67], s[20:21]
	v_add_f64 v[80:81], v[80:81], -v[86:87]
	v_mul_f64 v[86:87], v[238:239], s[16:17]
	v_accvgpr_read_b32 v95, a197
	v_accvgpr_read_b32 v96, a166
	;; [unrolled: 1-line block ×3, first 2 shown]
	v_add_f64 v[52:53], v[52:53], -v[100:101]
	v_add_f64 v[86:87], v[86:87], -v[94:95]
	v_mul_f64 v[94:95], v[88:89], s[24:25]
	v_accvgpr_read_b32 v97, a167
	v_add_f64 v[66:67], v[66:67], -v[98:99]
	v_add_f64 v[52:53], v[0:1], v[52:53]
	v_add_f64 v[94:95], v[94:95], -v[96:97]
	v_add_f64 v[52:53], v[66:67], v[52:53]
	v_add_f64 v[52:53], v[94:95], v[52:53]
	;; [unrolled: 1-line block ×3, first 2 shown]
	v_mul_f64 v[152:153], v[232:233], s[12:13]
	v_add_f64 v[52:53], v[80:81], v[52:53]
	v_mul_f64 v[154:155], v[46:47], s[8:9]
	v_mul_f64 v[156:157], v[46:47], s[24:25]
	v_add_f64 v[46:47], v[226:227], v[152:153]
	v_accvgpr_read_b32 v152, a244
	v_add_f64 v[52:53], v[78:79], v[52:53]
	v_mul_f64 v[78:79], v[84:85], s[20:21]
	v_mul_f64 v[84:85], v[84:85], s[16:17]
	v_accvgpr_read_b32 v153, a245
	v_add_f64 v[84:85], v[152:153], v[84:85]
	v_accvgpr_read_b32 v152, a216
	v_mul_f64 v[86:87], v[60:61], s[16:17]
	v_mul_f64 v[60:61], v[60:61], s[22:23]
	v_accvgpr_read_b32 v153, a217
	v_add_f64 v[60:61], v[152:153], v[60:61]
	v_accvgpr_read_b32 v152, a188
	v_mul_f64 v[150:151], v[240:241], s[24:25]
	v_accvgpr_read_b32 v153, a189
	v_add_f64 v[150:151], v[152:153], v[150:151]
	v_accvgpr_read_b32 v152, a156
	v_mul_f64 v[98:99], v[90:91], s[12:13]
	v_mul_f64 v[90:91], v[90:91], s[20:21]
	v_accvgpr_read_b32 v153, a157
	v_add_f64 v[90:91], v[152:153], v[90:91]
	v_accvgpr_read_b32 v153, a131
	v_mul_f64 v[56:57], v[68:69], s[14:15]
	;; [unrolled: 5-line block ×3, first 2 shown]
	v_mul_f64 v[54:55], v[54:55], s[14:15]
	v_accvgpr_read_b32 v152, a116
	v_add_f64 v[54:55], v[152:153], v[54:55]
	v_add_f64 v[54:55], v[2:3], v[54:55]
	;; [unrolled: 1-line block ×3, first 2 shown]
	v_accvgpr_read_b32 v68, a126
	v_mul_f64 v[42:43], v[232:233], s[18:19]
	v_accvgpr_read_b32 v69, a127
	v_add_f64 v[42:43], v[252:253], v[42:43]
	v_add_f64 v[54:55], v[90:91], v[54:55]
	v_add_f64 v[50:51], v[50:51], -v[68:69]
	v_accvgpr_read_b32 v68, a114
	v_add_f64 v[42:43], v[42:43], v[48:49]
	v_mul_f64 v[48:49], v[44:45], s[22:23]
	v_add_f64 v[92:93], v[92:93], v[154:155]
	v_mul_f64 v[154:155], v[44:45], s[24:25]
	v_mul_f64 v[44:45], v[44:45], s[8:9]
	v_add_f64 v[54:55], v[150:151], v[54:55]
	v_accvgpr_read_b32 v69, a115
	v_add_f64 v[48:49], v[48:49], -v[64:65]
	v_mul_f64 v[64:65], v[230:231], s[18:19]
	v_add_f64 v[54:55], v[60:61], v[54:55]
	v_add_f64 v[44:45], v[44:45], -v[62:63]
	v_accvgpr_read_b32 v60, a210
	v_accvgpr_read_b32 v62, a152
	v_add_f64 v[68:69], v[72:73], -v[68:69]
	v_add_f64 v[64:65], v[64:65], -v[242:243]
	v_mul_f64 v[96:97], v[88:89], s[12:13]
	v_mul_f64 v[88:89], v[88:89], s[20:21]
	v_mul_f64 v[94:95], v[58:59], s[16:17]
	v_mul_f64 v[58:59], v[58:59], s[22:23]
	v_add_f64 v[54:55], v[84:85], v[54:55]
	v_accvgpr_read_b32 v61, a211
	v_accvgpr_read_b32 v63, a153
	v_add_f64 v[68:69], v[0:1], v[68:69]
	v_add_f64 v[52:53], v[64:65], v[52:53]
	;; [unrolled: 1-line block ×3, first 2 shown]
	v_accvgpr_read_b32 v55, a45
	v_add_f64 v[58:59], v[58:59], -v[60:61]
	v_accvgpr_read_b32 v60, a182
	v_add_f64 v[62:63], v[88:89], -v[62:63]
	v_add_f64 v[50:51], v[50:51], v[68:69]
	v_mul_f64 v[102:103], v[238:239], s[24:25]
	v_add_f64 v[42:43], v[40:41], v[42:43]
	v_add_f64 v[40:41], v[48:49], v[52:53]
	v_mul_f64 v[52:53], v[230:231], s[12:13]
	v_accvgpr_read_b32 v54, a44
	v_accvgpr_read_b32 v61, a183
	v_add_f64 v[50:51], v[62:63], v[50:51]
	v_accvgpr_read_b32 v62, a122
	v_add_f64 v[52:53], v[52:53], -v[54:55]
	v_accvgpr_read_b32 v54, a238
	v_add_f64 v[60:61], v[102:103], -v[60:61]
	v_accvgpr_read_b32 v63, a123
	v_mul_f64 v[80:81], v[82:83], s[20:21]
	v_mul_f64 v[82:83], v[82:83], s[16:17]
	v_accvgpr_read_b32 v55, a239
	v_add_f64 v[50:51], v[60:61], v[50:51]
	v_add_f64 v[56:57], v[62:63], v[56:57]
	v_accvgpr_read_b32 v62, a112
	v_add_f64 v[54:55], v[82:83], -v[54:55]
	v_add_f64 v[50:51], v[58:59], v[50:51]
	v_accvgpr_read_b32 v63, a113
	v_add_f64 v[50:51], v[54:55], v[50:51]
	v_accvgpr_read_b32 v60, a148
	v_add_f64 v[62:63], v[62:63], v[74:75]
	v_add_f64 v[50:51], v[52:53], v[50:51]
	v_accvgpr_read_b32 v52, a52
	v_accvgpr_read_b32 v58, a176
	;; [unrolled: 1-line block ×3, first 2 shown]
	v_add_f64 v[62:63], v[2:3], v[62:63]
	v_mul_f64 v[66:67], v[240:241], s[18:19]
	v_mul_f64 v[48:49], v[232:233], s[22:23]
	v_accvgpr_read_b32 v53, a53
	v_accvgpr_read_b32 v54, a206
	;; [unrolled: 1-line block ×3, first 2 shown]
	v_add_f64 v[60:61], v[60:61], v[98:99]
	v_add_f64 v[56:57], v[56:57], v[62:63]
	;; [unrolled: 1-line block ×3, first 2 shown]
	v_accvgpr_read_b32 v52, a234
	v_accvgpr_read_b32 v55, a207
	v_add_f64 v[58:59], v[58:59], v[66:67]
	v_add_f64 v[56:57], v[60:61], v[56:57]
	v_accvgpr_read_b32 v53, a235
	v_add_f64 v[54:55], v[54:55], v[86:87]
	v_add_f64 v[56:57], v[58:59], v[56:57]
	;; [unrolled: 1-line block ×6, first 2 shown]
	v_accvgpr_read_b32 v52, a64
	v_mul_f64 v[64:65], v[230:231], s[22:23]
	v_accvgpr_read_b32 v53, a65
	v_add_f64 v[52:53], v[64:65], -v[52:53]
	v_accvgpr_read_b32 v64, a110
	v_accvgpr_read_b32 v65, a111
	v_add_f64 v[64:65], v[76:77], -v[64:65]
	v_add_f64 v[64:65], v[0:1], v[64:65]
	v_add_f64 v[2:3], v[2:3], v[6:7]
	;; [unrolled: 1-line block ×15, first 2 shown]
	v_accvgpr_read_b32 v62, a120
	v_add_f64 v[2:3], v[2:3], v[114:115]
	v_add_f64 v[0:1], v[0:1], v[112:113]
	v_accvgpr_read_b32 v60, a142
	v_accvgpr_read_b32 v63, a121
	v_add_f64 v[2:3], v[2:3], v[118:119]
	v_add_f64 v[0:1], v[0:1], v[116:117]
	v_accvgpr_read_b32 v58, a172
	v_accvgpr_read_b32 v61, a143
	v_add_f64 v[62:63], v[70:71], -v[62:63]
	v_add_f64 v[2:3], v[2:3], v[122:123]
	v_add_f64 v[0:1], v[0:1], v[120:121]
	v_mul_f64 v[100:101], v[238:239], s[18:19]
	v_accvgpr_read_b32 v56, a202
	v_accvgpr_read_b32 v59, a173
	v_add_f64 v[60:61], v[96:97], -v[60:61]
	v_add_f64 v[62:63], v[62:63], v[64:65]
	v_add_f64 v[2:3], v[2:3], v[126:127]
	;; [unrolled: 1-line block ×3, first 2 shown]
	v_accvgpr_read_b32 v54, a230
	v_accvgpr_read_b32 v57, a203
	v_add_f64 v[58:59], v[100:101], -v[58:59]
	v_add_f64 v[60:61], v[60:61], v[62:63]
	v_add_f64 v[2:3], v[2:3], v[130:131]
	;; [unrolled: 1-line block ×3, first 2 shown]
	v_accvgpr_read_b32 v55, a231
	v_add_f64 v[56:57], v[94:95], -v[56:57]
	v_add_f64 v[58:59], v[58:59], v[60:61]
	v_add_f64 v[2:3], v[2:3], v[134:135]
	;; [unrolled: 1-line block ×3, first 2 shown]
	v_add_f64 v[54:55], v[80:81], -v[54:55]
	v_add_f64 v[56:57], v[56:57], v[58:59]
	v_add_f64 v[2:3], v[2:3], v[138:139]
	v_add_f64 v[0:1], v[0:1], v[136:137]
	v_add_f64 v[44:45], v[44:45], v[50:51]
	v_add_f64 v[50:51], v[250:251], v[156:157]
	v_add_f64 v[54:55], v[54:55], v[56:57]
	v_add_f64 v[2:3], v[2:3], v[142:143]
	v_add_f64 v[0:1], v[0:1], v[140:141]
	v_add_f64 v[50:51], v[50:51], v[48:49]
	v_add_f64 v[48:49], v[154:155], -v[248:249]
	v_add_f64 v[52:53], v[52:53], v[54:55]
	v_add_f64 v[2:3], v[2:3], v[146:147]
	;; [unrolled: 1-line block ×3, first 2 shown]
	v_lshl_add_u32 v4, v161, 4, v160
	v_add_f64 v[46:47], v[92:93], v[46:47]
	v_add_f64 v[48:49], v[48:49], v[52:53]
	ds_write_b128 v4, v[0:3]
	ds_write_b128 v4, v[48:51] offset:16
	ds_write_b128 v4, v[44:47] offset:32
	;; [unrolled: 1-line block ×16, first 2 shown]
.LBB0_7:
	s_or_b64 exec, exec, s[26:27]
	v_mov_b64_e32 v[234:235], v[220:221]
	v_lshl_add_u64 v[84:85], v[234:235], 0, 34
	s_movk_i32 s12, 0xf1
	v_mul_lo_u16_sdwa v8, v84, s12 dst_sel:DWORD dst_unused:UNUSED_PAD src0_sel:BYTE_0 src1_sel:DWORD
	v_lshrrev_b16_e32 v8, 12, v8
	v_mul_lo_u16_e32 v8, 17, v8
	v_sub_u16_e32 v85, v84, v8
	v_lshlrev_b16_e32 v8, 2, v85
	v_lshlrev_b32_e32 v118, 6, v234
	v_and_b32_e32 v8, 0xfc, v8
	v_lshl_add_u64 v[86:87], v[234:235], 0, 51
	s_waitcnt lgkmcnt(0)
	; wave barrier
	s_waitcnt lgkmcnt(0)
	global_load_dwordx4 v[196:199], v118, s[0:1]
	global_load_dwordx4 v[192:195], v118, s[0:1] offset:16
	global_load_dwordx4 v[188:191], v118, s[0:1] offset:32
	;; [unrolled: 1-line block ×3, first 2 shown]
	v_lshlrev_b32_e32 v8, 4, v8
	v_mul_lo_u16_sdwa v9, v86, s12 dst_sel:DWORD dst_unused:UNUSED_PAD src0_sel:BYTE_0 src1_sel:DWORD
	ds_read_b128 v[4:7], v148
	ds_read_b128 v[0:3], v148 offset:272
	ds_read_b128 v[32:35], v148 offset:2720
	;; [unrolled: 1-line block ×5, first 2 shown]
	global_load_dwordx4 v[80:83], v8, s[0:1] offset:16
	global_load_dwordx4 v[106:109], v8, s[0:1]
	ds_read_b128 v[36:39], v148 offset:1632
	ds_read_b128 v[40:43], v148 offset:1904
	;; [unrolled: 1-line block ×4, first 2 shown]
	global_load_dwordx4 v[150:153], v8, s[0:1] offset:48
	global_load_dwordx4 v[162:165], v8, s[0:1] offset:32
	v_lshrrev_b16_e32 v8, 12, v9
	v_mul_lo_u16_e32 v8, 17, v8
	v_sub_u16_e32 v87, v86, v8
	v_lshlrev_b16_e32 v8, 2, v87
	s_mov_b64 s[8:9], 0x44
	v_and_b32_e32 v8, 0xfc, v8
	v_lshl_add_u64 v[88:89], v[234:235], 0, s[8:9]
	v_lshlrev_b32_e32 v16, 4, v8
	v_mul_lo_u16_sdwa v17, v88, s12 dst_sel:DWORD dst_unused:UNUSED_PAD src0_sel:BYTE_0 src1_sel:DWORD
	global_load_dwordx4 v[114:117], v16, s[0:1] offset:16
	global_load_dwordx4 v[154:157], v16, s[0:1]
	ds_read_b128 v[12:15], v148 offset:544
	ds_read_b128 v[8:11], v148 offset:816
	global_load_dwordx4 v[170:173], v16, s[0:1] offset:48
	global_load_dwordx4 v[178:181], v16, s[0:1] offset:32
	v_lshrrev_b16_e32 v16, 12, v17
	v_mul_lo_u16_e32 v16, 17, v16
	v_sub_u16_e32 v89, v88, v16
	v_lshlrev_b16_e32 v16, 2, v89
	v_and_b32_e32 v16, 0xfc, v16
	v_lshlrev_b32_e32 v48, 4, v16
	global_load_dwordx4 v[166:169], v48, s[0:1] offset:16
	global_load_dwordx4 v[174:177], v48, s[0:1]
	ds_read_b128 v[76:79], v148 offset:3264
	ds_read_b128 v[90:93], v148 offset:3536
	ds_read_b128 v[94:97], v148 offset:5984
	ds_read_b128 v[98:101], v148 offset:6256
	ds_read_b128 v[44:47], v148 offset:1360
	ds_read_b128 v[16:19], v148 offset:1088
	global_load_dwordx4 v[240:243], v48, s[0:1] offset:48
	global_load_dwordx4 v[244:247], v48, s[0:1] offset:32
	ds_read_b128 v[102:105], v148 offset:2176
	ds_read_b128 v[120:123], v148 offset:2448
	;; [unrolled: 1-line block ×7, first 2 shown]
	s_mov_b32 s8, 0x134454ff
	s_mov_b32 s9, 0x3fee6f0e
	;; [unrolled: 1-line block ×10, first 2 shown]
	s_waitcnt lgkmcnt(0)
	; wave barrier
	s_waitcnt vmcnt(15) lgkmcnt(0)
	v_mul_f64 v[64:65], v[44:45], v[198:199]
	s_waitcnt vmcnt(14)
	v_mul_f64 v[54:55], v[34:35], v[194:195]
	v_mul_f64 v[136:137], v[32:33], v[194:195]
	s_waitcnt vmcnt(13)
	v_mul_f64 v[60:61], v[50:51], v[190:191]
	v_fma_f64 v[140:141], v[32:33], v[192:193], -v[54:55]
	s_waitcnt vmcnt(12)
	v_mul_f64 v[32:33], v[30:31], v[186:187]
	v_mul_f64 v[138:139], v[48:49], v[190:191]
	v_fmac_f64_e32 v[136:137], v[34:35], v[192:193]
	v_fma_f64 v[34:35], v[48:49], v[188:189], -v[60:61]
	v_fma_f64 v[48:49], v[28:29], v[184:185], -v[32:33]
	v_mul_f64 v[142:143], v[28:29], v[186:187]
	v_mul_f64 v[28:29], v[38:39], v[198:199]
	;; [unrolled: 1-line block ×3, first 2 shown]
	v_fmac_f64_e32 v[64:65], v[46:47], v[196:197]
	v_fma_f64 v[46:47], v[36:37], v[196:197], -v[28:29]
	v_mul_f64 v[28:29], v[26:27], v[194:195]
	v_fmac_f64_e32 v[138:139], v[50:51], v[188:189]
	v_fma_f64 v[50:51], v[24:25], v[192:193], -v[28:29]
	v_mul_f64 v[54:55], v[24:25], v[194:195]
	v_mul_f64 v[24:25], v[58:59], v[190:191]
	v_fma_f64 v[60:61], v[56:57], v[188:189], -v[24:25]
	v_mul_f64 v[56:57], v[56:57], v[190:191]
	v_mul_f64 v[24:25], v[22:23], v[186:187]
	v_fmac_f64_e32 v[56:57], v[58:59], v[188:189]
	v_fma_f64 v[144:145], v[20:21], v[184:185], -v[24:25]
	v_mul_f64 v[58:59], v[20:21], v[186:187]
	s_waitcnt vmcnt(10)
	v_mul_f64 v[20:21], v[42:43], v[108:109]
	v_fma_f64 v[62:63], v[40:41], v[106:107], -v[20:21]
	v_mul_f64 v[20:21], v[78:79], v[82:83]
	v_fma_f64 v[66:67], v[76:77], v[80:81], -v[20:21]
	s_waitcnt vmcnt(8)
	v_mul_f64 v[20:21], v[74:75], v[164:165]
	v_mul_f64 v[70:71], v[76:77], v[82:83]
	v_accvgpr_write_b32 a157, v83
	v_fma_f64 v[76:77], v[72:73], v[162:163], -v[20:21]
	v_mul_f64 v[20:21], v[96:97], v[152:153]
	v_accvgpr_write_b32 a156, v82
	v_accvgpr_write_b32 a155, v81
	;; [unrolled: 1-line block ×3, first 2 shown]
	v_fmac_f64_e32 v[70:71], v[78:79], v[80:81]
	v_fma_f64 v[80:81], v[94:95], v[150:151], -v[20:21]
	s_waitcnt vmcnt(6)
	v_mul_f64 v[20:21], v[104:105], v[156:157]
	v_accvgpr_write_b32 a161, v109
	v_fma_f64 v[78:79], v[102:103], v[154:155], -v[20:21]
	v_mul_f64 v[20:21], v[92:93], v[116:117]
	v_mul_f64 v[68:69], v[40:41], v[108:109]
	v_accvgpr_write_b32 a160, v108
	v_accvgpr_write_b32 a159, v107
	;; [unrolled: 1-line block ×3, first 2 shown]
	v_fma_f64 v[82:83], v[90:91], v[114:115], -v[20:21]
	v_mul_f64 v[108:109], v[90:91], v[116:117]
	v_accvgpr_write_b32 a165, v117
	s_waitcnt vmcnt(4)
	v_mul_f64 v[20:21], v[112:113], v[180:181]
	v_accvgpr_write_b32 a164, v116
	v_accvgpr_write_b32 a163, v115
	;; [unrolled: 1-line block ×3, first 2 shown]
	v_fmac_f64_e32 v[108:109], v[92:93], v[114:115]
	v_fma_f64 v[114:115], v[110:111], v[178:179], -v[20:21]
	v_mul_f64 v[20:21], v[100:101], v[172:173]
	v_mul_f64 v[110:111], v[110:111], v[180:181]
	v_fma_f64 v[116:117], v[98:99], v[170:171], -v[20:21]
	s_waitcnt vmcnt(2)
	v_mul_f64 v[20:21], v[122:123], v[176:177]
	v_fmac_f64_e32 v[110:111], v[112:113], v[178:179]
	v_mul_f64 v[112:113], v[98:99], v[172:173]
	v_fma_f64 v[98:99], v[120:121], v[174:175], -v[20:21]
	v_mul_f64 v[20:21], v[126:127], v[168:169]
	v_fmac_f64_e32 v[112:113], v[100:101], v[170:171]
	v_fma_f64 v[100:101], v[124:125], v[166:167], -v[20:21]
	s_waitcnt vmcnt(0)
	v_mul_f64 v[20:21], v[130:131], v[246:247]
	v_fma_f64 v[44:45], v[44:45], v[196:197], -v[52:53]
	v_fmac_f64_e32 v[68:69], v[42:43], v[106:107]
	v_mul_f64 v[106:107], v[102:103], v[156:157]
	v_fma_f64 v[102:103], v[128:129], v[244:245], -v[20:21]
	v_mul_f64 v[20:21], v[134:135], v[242:243]
	v_fmac_f64_e32 v[106:107], v[104:105], v[154:155]
	v_fma_f64 v[104:105], v[132:133], v[240:241], -v[20:21]
	v_add_f64 v[20:21], v[4:5], v[44:45]
	v_add_f64 v[20:21], v[20:21], v[140:141]
	;; [unrolled: 1-line block ×3, first 2 shown]
	v_fmac_f64_e32 v[142:143], v[30:31], v[184:185]
	v_add_f64 v[24:25], v[20:21], v[48:49]
	v_add_f64 v[20:21], v[140:141], v[34:35]
	v_fmac_f64_e32 v[58:59], v[22:23], v[184:185]
	v_fma_f64 v[20:21], -0.5, v[20:21], v[4:5]
	v_add_f64 v[22:23], v[64:65], -v[142:143]
	v_fmac_f64_e32 v[54:55], v[26:27], v[192:193]
	v_fma_f64 v[28:29], s[8:9], v[22:23], v[20:21]
	v_add_f64 v[26:27], v[136:137], -v[138:139]
	v_add_f64 v[30:31], v[44:45], -v[140:141]
	;; [unrolled: 1-line block ×3, first 2 shown]
	v_fmac_f64_e32 v[20:21], s[16:17], v[22:23]
	v_fmac_f64_e32 v[28:29], s[12:13], v[26:27]
	v_add_f64 v[30:31], v[30:31], v[32:33]
	v_fmac_f64_e32 v[20:21], s[18:19], v[26:27]
	v_fmac_f64_e32 v[28:29], s[14:15], v[30:31]
	;; [unrolled: 1-line block ×3, first 2 shown]
	v_add_f64 v[30:31], v[44:45], v[48:49]
	v_fmac_f64_e32 v[4:5], -0.5, v[30:31]
	v_fma_f64 v[32:33], s[16:17], v[26:27], v[4:5]
	v_fmac_f64_e32 v[4:5], s[8:9], v[26:27]
	v_fmac_f64_e32 v[32:33], s[12:13], v[22:23]
	;; [unrolled: 1-line block ×3, first 2 shown]
	v_add_f64 v[22:23], v[6:7], v[64:65]
	v_add_f64 v[22:23], v[22:23], v[136:137]
	;; [unrolled: 1-line block ×3, first 2 shown]
	v_mul_f64 v[52:53], v[36:37], v[198:199]
	v_add_f64 v[30:31], v[140:141], -v[44:45]
	v_add_f64 v[36:37], v[34:35], -v[48:49]
	v_add_f64 v[26:27], v[22:23], v[142:143]
	v_add_f64 v[22:23], v[136:137], v[138:139]
	;; [unrolled: 1-line block ×3, first 2 shown]
	v_fma_f64 v[22:23], -0.5, v[22:23], v[6:7]
	v_add_f64 v[36:37], v[44:45], -v[48:49]
	v_fmac_f64_e32 v[52:53], v[38:39], v[196:197]
	v_fmac_f64_e32 v[32:33], s[14:15], v[30:31]
	;; [unrolled: 1-line block ×3, first 2 shown]
	v_fma_f64 v[30:31], s[16:17], v[36:37], v[22:23]
	v_add_f64 v[38:39], v[140:141], -v[34:35]
	v_add_f64 v[34:35], v[64:65], -v[136:137]
	;; [unrolled: 1-line block ×3, first 2 shown]
	v_fmac_f64_e32 v[22:23], s[8:9], v[36:37]
	v_fmac_f64_e32 v[30:31], s[18:19], v[38:39]
	v_add_f64 v[34:35], v[34:35], v[40:41]
	v_fmac_f64_e32 v[22:23], s[12:13], v[38:39]
	v_fmac_f64_e32 v[30:31], s[14:15], v[34:35]
	;; [unrolled: 1-line block ×3, first 2 shown]
	v_add_f64 v[34:35], v[64:65], v[142:143]
	v_fmac_f64_e32 v[6:7], -0.5, v[34:35]
	v_fma_f64 v[34:35], s[8:9], v[38:39], v[6:7]
	v_fmac_f64_e32 v[6:7], s[16:17], v[38:39]
	v_fmac_f64_e32 v[34:35], s[18:19], v[36:37]
	;; [unrolled: 1-line block ×3, first 2 shown]
	v_add_f64 v[36:37], v[0:1], v[46:47]
	v_add_f64 v[40:41], v[136:137], -v[64:65]
	v_add_f64 v[42:43], v[138:139], -v[142:143]
	v_add_f64 v[36:37], v[36:37], v[50:51]
	v_add_f64 v[40:41], v[40:41], v[42:43]
	;; [unrolled: 1-line block ×3, first 2 shown]
	v_fmac_f64_e32 v[34:35], s[14:15], v[40:41]
	v_fmac_f64_e32 v[6:7], s[14:15], v[40:41]
	v_add_f64 v[40:41], v[36:37], v[144:145]
	v_add_f64 v[36:37], v[50:51], v[60:61]
	v_fma_f64 v[36:37], -0.5, v[36:37], v[0:1]
	v_add_f64 v[38:39], v[52:53], -v[58:59]
	v_fma_f64 v[44:45], s[8:9], v[38:39], v[36:37]
	v_add_f64 v[42:43], v[54:55], -v[56:57]
	v_add_f64 v[48:49], v[46:47], -v[50:51]
	;; [unrolled: 1-line block ×3, first 2 shown]
	v_fmac_f64_e32 v[36:37], s[16:17], v[38:39]
	v_fmac_f64_e32 v[44:45], s[12:13], v[42:43]
	v_add_f64 v[48:49], v[48:49], v[64:65]
	v_fmac_f64_e32 v[36:37], s[18:19], v[42:43]
	v_fmac_f64_e32 v[44:45], s[14:15], v[48:49]
	;; [unrolled: 1-line block ×3, first 2 shown]
	v_add_f64 v[48:49], v[46:47], v[144:145]
	v_fmac_f64_e32 v[0:1], -0.5, v[48:49]
	v_fma_f64 v[48:49], s[16:17], v[42:43], v[0:1]
	v_fmac_f64_e32 v[0:1], s[8:9], v[42:43]
	v_fmac_f64_e32 v[48:49], s[12:13], v[38:39]
	;; [unrolled: 1-line block ×3, first 2 shown]
	v_add_f64 v[38:39], v[2:3], v[52:53]
	v_add_f64 v[38:39], v[38:39], v[54:55]
	v_mul_f64 v[90:91], v[120:121], v[176:177]
	v_add_f64 v[64:65], v[50:51], -v[46:47]
	v_add_f64 v[120:121], v[60:61], -v[144:145]
	v_add_f64 v[38:39], v[38:39], v[56:57]
	v_add_f64 v[64:65], v[64:65], v[120:121]
	;; [unrolled: 1-line block ×4, first 2 shown]
	v_fmac_f64_e32 v[48:49], s[14:15], v[64:65]
	v_fmac_f64_e32 v[0:1], s[14:15], v[64:65]
	v_fma_f64 v[38:39], -0.5, v[38:39], v[2:3]
	v_add_f64 v[64:65], v[46:47], -v[144:145]
	v_fma_f64 v[46:47], s[16:17], v[64:65], v[38:39]
	v_add_f64 v[60:61], v[50:51], -v[60:61]
	v_add_f64 v[50:51], v[52:53], -v[54:55]
	;; [unrolled: 1-line block ×3, first 2 shown]
	v_fmac_f64_e32 v[38:39], s[8:9], v[64:65]
	v_fmac_f64_e32 v[46:47], s[18:19], v[60:61]
	v_add_f64 v[50:51], v[50:51], v[120:121]
	v_fmac_f64_e32 v[38:39], s[12:13], v[60:61]
	v_fmac_f64_e32 v[46:47], s[14:15], v[50:51]
	;; [unrolled: 1-line block ×3, first 2 shown]
	v_add_f64 v[50:51], v[52:53], v[58:59]
	v_fmac_f64_e32 v[2:3], -0.5, v[50:51]
	v_fma_f64 v[50:51], s[8:9], v[60:61], v[2:3]
	v_add_f64 v[52:53], v[54:55], -v[52:53]
	v_add_f64 v[54:55], v[56:57], -v[58:59]
	v_fmac_f64_e32 v[2:3], s[16:17], v[60:61]
	v_fmac_f64_e32 v[50:51], s[18:19], v[64:65]
	v_add_f64 v[52:53], v[52:53], v[54:55]
	v_fmac_f64_e32 v[2:3], s[12:13], v[64:65]
	v_fmac_f64_e32 v[50:51], s[14:15], v[52:53]
	;; [unrolled: 1-line block ×3, first 2 shown]
	v_add_f64 v[52:53], v[12:13], v[62:63]
	v_mul_f64 v[72:73], v[72:73], v[164:165]
	v_add_f64 v[52:53], v[52:53], v[66:67]
	v_fmac_f64_e32 v[72:73], v[74:75], v[162:163]
	v_mul_f64 v[74:75], v[94:95], v[152:153]
	v_add_f64 v[52:53], v[52:53], v[76:77]
	v_fmac_f64_e32 v[74:75], v[96:97], v[150:151]
	v_add_f64 v[56:57], v[52:53], v[80:81]
	v_add_f64 v[52:53], v[66:67], v[76:77]
	v_fma_f64 v[52:53], -0.5, v[52:53], v[12:13]
	v_add_f64 v[54:55], v[68:69], -v[74:75]
	v_fma_f64 v[60:61], s[8:9], v[54:55], v[52:53]
	v_add_f64 v[58:59], v[70:71], -v[72:73]
	v_add_f64 v[64:65], v[62:63], -v[66:67]
	;; [unrolled: 1-line block ×3, first 2 shown]
	v_fmac_f64_e32 v[52:53], s[16:17], v[54:55]
	v_fmac_f64_e32 v[60:61], s[12:13], v[58:59]
	v_add_f64 v[64:65], v[64:65], v[120:121]
	v_fmac_f64_e32 v[52:53], s[18:19], v[58:59]
	v_fmac_f64_e32 v[60:61], s[14:15], v[64:65]
	;; [unrolled: 1-line block ×3, first 2 shown]
	v_add_f64 v[64:65], v[62:63], v[80:81]
	v_fmac_f64_e32 v[12:13], -0.5, v[64:65]
	v_fma_f64 v[64:65], s[16:17], v[58:59], v[12:13]
	v_fmac_f64_e32 v[12:13], s[8:9], v[58:59]
	v_fmac_f64_e32 v[64:65], s[12:13], v[54:55]
	;; [unrolled: 1-line block ×3, first 2 shown]
	v_add_f64 v[54:55], v[14:15], v[68:69]
	v_add_f64 v[54:55], v[54:55], v[70:71]
	;; [unrolled: 1-line block ×3, first 2 shown]
	v_fmac_f64_e32 v[90:91], v[122:123], v[174:175]
	v_add_f64 v[120:121], v[66:67], -v[62:63]
	v_add_f64 v[122:123], v[76:77], -v[80:81]
	v_add_f64 v[58:59], v[54:55], v[74:75]
	v_add_f64 v[54:55], v[70:71], v[72:73]
	;; [unrolled: 1-line block ×3, first 2 shown]
	v_fma_f64 v[54:55], -0.5, v[54:55], v[14:15]
	v_add_f64 v[80:81], v[62:63], -v[80:81]
	v_fmac_f64_e32 v[64:65], s[14:15], v[120:121]
	v_fmac_f64_e32 v[12:13], s[14:15], v[120:121]
	v_fma_f64 v[62:63], s[16:17], v[80:81], v[54:55]
	v_add_f64 v[76:77], v[66:67], -v[76:77]
	v_add_f64 v[66:67], v[68:69], -v[70:71]
	;; [unrolled: 1-line block ×3, first 2 shown]
	v_fmac_f64_e32 v[54:55], s[8:9], v[80:81]
	v_fmac_f64_e32 v[62:63], s[18:19], v[76:77]
	v_add_f64 v[66:67], v[66:67], v[120:121]
	v_fmac_f64_e32 v[54:55], s[12:13], v[76:77]
	v_fmac_f64_e32 v[62:63], s[14:15], v[66:67]
	;; [unrolled: 1-line block ×3, first 2 shown]
	v_add_f64 v[66:67], v[68:69], v[74:75]
	v_fmac_f64_e32 v[14:15], -0.5, v[66:67]
	v_fma_f64 v[66:67], s[8:9], v[76:77], v[14:15]
	v_add_f64 v[68:69], v[70:71], -v[68:69]
	v_add_f64 v[70:71], v[72:73], -v[74:75]
	v_fmac_f64_e32 v[14:15], s[16:17], v[76:77]
	v_fmac_f64_e32 v[66:67], s[18:19], v[80:81]
	v_add_f64 v[68:69], v[68:69], v[70:71]
	v_fmac_f64_e32 v[14:15], s[12:13], v[80:81]
	v_fmac_f64_e32 v[66:67], s[14:15], v[68:69]
	;; [unrolled: 1-line block ×3, first 2 shown]
	v_add_f64 v[68:69], v[8:9], v[78:79]
	v_add_f64 v[68:69], v[68:69], v[82:83]
	;; [unrolled: 1-line block ×5, first 2 shown]
	v_fma_f64 v[68:69], -0.5, v[68:69], v[8:9]
	v_add_f64 v[70:71], v[106:107], -v[112:113]
	v_fma_f64 v[76:77], s[8:9], v[70:71], v[68:69]
	v_add_f64 v[74:75], v[108:109], -v[110:111]
	v_add_f64 v[80:81], v[78:79], -v[82:83]
	;; [unrolled: 1-line block ×3, first 2 shown]
	v_fmac_f64_e32 v[68:69], s[16:17], v[70:71]
	v_fmac_f64_e32 v[76:77], s[12:13], v[74:75]
	v_add_f64 v[80:81], v[80:81], v[120:121]
	v_fmac_f64_e32 v[68:69], s[18:19], v[74:75]
	v_fmac_f64_e32 v[76:77], s[14:15], v[80:81]
	;; [unrolled: 1-line block ×3, first 2 shown]
	v_add_f64 v[80:81], v[78:79], v[116:117]
	v_fmac_f64_e32 v[8:9], -0.5, v[80:81]
	v_fma_f64 v[80:81], s[16:17], v[74:75], v[8:9]
	v_fmac_f64_e32 v[8:9], s[8:9], v[74:75]
	v_fmac_f64_e32 v[80:81], s[12:13], v[70:71]
	v_fmac_f64_e32 v[8:9], s[18:19], v[70:71]
	v_add_f64 v[70:71], v[10:11], v[106:107]
	v_add_f64 v[70:71], v[70:71], v[108:109]
	;; [unrolled: 1-line block ×3, first 2 shown]
	v_add_f64 v[120:121], v[82:83], -v[78:79]
	v_add_f64 v[122:123], v[114:115], -v[116:117]
	v_add_f64 v[74:75], v[70:71], v[112:113]
	v_add_f64 v[70:71], v[108:109], v[110:111]
	;; [unrolled: 1-line block ×3, first 2 shown]
	v_fma_f64 v[70:71], -0.5, v[70:71], v[10:11]
	v_add_f64 v[116:117], v[78:79], -v[116:117]
	v_fmac_f64_e32 v[80:81], s[14:15], v[120:121]
	v_fmac_f64_e32 v[8:9], s[14:15], v[120:121]
	v_fma_f64 v[78:79], s[16:17], v[116:117], v[70:71]
	v_add_f64 v[114:115], v[82:83], -v[114:115]
	v_add_f64 v[82:83], v[106:107], -v[108:109]
	;; [unrolled: 1-line block ×3, first 2 shown]
	v_fmac_f64_e32 v[70:71], s[8:9], v[116:117]
	v_fmac_f64_e32 v[78:79], s[18:19], v[114:115]
	v_add_f64 v[82:83], v[82:83], v[120:121]
	v_fmac_f64_e32 v[70:71], s[12:13], v[114:115]
	v_mul_f64 v[96:97], v[132:133], v[242:243]
	v_fmac_f64_e32 v[78:79], s[14:15], v[82:83]
	v_fmac_f64_e32 v[70:71], s[14:15], v[82:83]
	v_add_f64 v[82:83], v[106:107], v[112:113]
	v_add_f64 v[106:107], v[108:109], -v[106:107]
	v_add_f64 v[108:109], v[110:111], -v[112:113]
	v_mul_f64 v[92:93], v[124:125], v[168:169]
	v_mul_f64 v[94:95], v[128:129], v[246:247]
	v_fmac_f64_e32 v[96:97], v[134:135], v[240:241]
	v_fmac_f64_e32 v[10:11], -0.5, v[82:83]
	v_add_f64 v[106:107], v[106:107], v[108:109]
	v_add_f64 v[108:109], v[100:101], v[102:103]
	v_fmac_f64_e32 v[92:93], v[126:127], v[166:167]
	v_fmac_f64_e32 v[94:95], v[130:131], v[244:245]
	v_fma_f64 v[82:83], s[8:9], v[114:115], v[10:11]
	v_fmac_f64_e32 v[10:11], s[16:17], v[114:115]
	v_fma_f64 v[110:111], -0.5, v[108:109], v[16:17]
	v_add_f64 v[108:109], v[90:91], -v[96:97]
	v_fmac_f64_e32 v[82:83], s[18:19], v[116:117]
	v_fmac_f64_e32 v[10:11], s[12:13], v[116:117]
	v_fma_f64 v[114:115], s[8:9], v[108:109], v[110:111]
	v_add_f64 v[112:113], v[92:93], -v[94:95]
	v_add_f64 v[116:117], v[98:99], -v[100:101]
	;; [unrolled: 1-line block ×3, first 2 shown]
	v_fmac_f64_e32 v[110:111], s[16:17], v[108:109]
	v_fmac_f64_e32 v[114:115], s[12:13], v[112:113]
	v_add_f64 v[116:117], v[116:117], v[120:121]
	v_fmac_f64_e32 v[110:111], s[18:19], v[112:113]
	v_fmac_f64_e32 v[114:115], s[14:15], v[116:117]
	;; [unrolled: 1-line block ×3, first 2 shown]
	v_add_f64 v[116:117], v[98:99], v[104:105]
	v_fmac_f64_e32 v[82:83], s[14:15], v[106:107]
	v_fmac_f64_e32 v[10:11], s[14:15], v[106:107]
	v_add_f64 v[106:107], v[16:17], v[98:99]
	v_fmac_f64_e32 v[16:17], -0.5, v[116:117]
	v_add_f64 v[106:107], v[106:107], v[100:101]
	v_fma_f64 v[120:121], s[16:17], v[112:113], v[16:17]
	v_add_f64 v[116:117], v[100:101], -v[98:99]
	v_add_f64 v[122:123], v[102:103], -v[104:105]
	v_fmac_f64_e32 v[16:17], s[8:9], v[112:113]
	v_add_f64 v[112:113], v[92:93], v[94:95]
	v_add_f64 v[106:107], v[106:107], v[102:103]
	v_fmac_f64_e32 v[120:121], s[12:13], v[108:109]
	v_add_f64 v[116:117], v[116:117], v[122:123]
	v_fmac_f64_e32 v[16:17], s[18:19], v[108:109]
	v_fma_f64 v[112:113], -0.5, v[112:113], v[18:19]
	v_add_f64 v[98:99], v[98:99], -v[104:105]
	v_add_f64 v[106:107], v[106:107], v[104:105]
	v_fmac_f64_e32 v[120:121], s[14:15], v[116:117]
	v_fmac_f64_e32 v[16:17], s[14:15], v[116:117]
	v_fma_f64 v[116:117], s[16:17], v[98:99], v[112:113]
	v_add_f64 v[100:101], v[100:101], -v[102:103]
	v_add_f64 v[102:103], v[90:91], -v[92:93]
	;; [unrolled: 1-line block ×3, first 2 shown]
	v_fmac_f64_e32 v[112:113], s[8:9], v[98:99]
	v_fmac_f64_e32 v[116:117], s[18:19], v[100:101]
	v_add_f64 v[102:103], v[102:103], v[104:105]
	v_fmac_f64_e32 v[112:113], s[12:13], v[100:101]
	v_accvgpr_write_b32 a177, v165
	v_add_f64 v[108:109], v[18:19], v[90:91]
	v_fmac_f64_e32 v[116:117], s[14:15], v[102:103]
	v_fmac_f64_e32 v[112:113], s[14:15], v[102:103]
	v_add_f64 v[102:103], v[90:91], v[96:97]
	ds_write_b128 v148, v[24:27]
	ds_write_b128 v148, v[28:31] offset:272
	ds_write_b128 v148, v[32:35] offset:544
	;; [unrolled: 1-line block ×9, first 2 shown]
	v_and_b32_e32 v0, 0xff, v85
	v_accvgpr_write_b32 a176, v164
	v_accvgpr_write_b32 a175, v163
	;; [unrolled: 1-line block ×3, first 2 shown]
	v_add_f64 v[108:109], v[108:109], v[92:93]
	v_fmac_f64_e32 v[18:19], -0.5, v[102:103]
	v_lshl_add_u32 v162, v0, 4, v160
	v_and_b32_e32 v0, 0xff, v87
	v_accvgpr_write_b32 a169, v153
	v_add_f64 v[108:109], v[108:109], v[94:95]
	v_fma_f64 v[122:123], s[8:9], v[100:101], v[18:19]
	v_add_f64 v[90:91], v[92:93], -v[90:91]
	v_add_f64 v[92:93], v[94:95], -v[96:97]
	v_fmac_f64_e32 v[18:19], s[16:17], v[100:101]
	v_lshl_add_u32 v163, v0, 4, v160
	v_and_b32_e32 v0, 0xff, v89
	v_accvgpr_write_b32 a168, v152
	v_accvgpr_write_b32 a167, v151
	;; [unrolled: 1-line block ×7, first 2 shown]
	v_add_f64 v[108:109], v[108:109], v[96:97]
	v_fmac_f64_e32 v[122:123], s[18:19], v[98:99]
	v_add_f64 v[90:91], v[90:91], v[92:93]
	v_fmac_f64_e32 v[18:19], s[12:13], v[98:99]
	v_lshl_add_u32 v151, v0, 4, v160
	v_accvgpr_write_b32 a192, v180
	v_accvgpr_write_b32 a191, v179
	;; [unrolled: 1-line block ×12, first 2 shown]
	v_fmac_f64_e32 v[122:123], s[14:15], v[90:91]
	v_fmac_f64_e32 v[18:19], s[14:15], v[90:91]
	ds_write_b128 v162, v[56:59] offset:2720
	ds_write_b128 v162, v[60:63] offset:2992
	;; [unrolled: 1-line block ×15, first 2 shown]
	s_waitcnt lgkmcnt(0)
	; wave barrier
	s_waitcnt lgkmcnt(0)
	global_load_dwordx4 v[176:179], v118, s[0:1] offset:1088
	global_load_dwordx4 v[172:175], v118, s[0:1] offset:1104
	global_load_dwordx4 v[168:171], v118, s[0:1] offset:1120
	global_load_dwordx4 v[164:167], v118, s[0:1] offset:1136
	v_lshlrev_b32_e32 v0, 6, v158
	global_load_dwordx4 v[208:211], v0, s[0:1] offset:1088
	global_load_dwordx4 v[204:207], v0, s[0:1] offset:1104
	;; [unrolled: 1-line block ×4, first 2 shown]
	v_lshlrev_b32_e32 v0, 6, v84
	v_lshlrev_b32_e32 v8, 6, v86
	global_load_dwordx4 v[230:233], v0, s[0:1] offset:1088
	global_load_dwordx4 v[226:229], v0, s[0:1] offset:1104
	;; [unrolled: 1-line block ×6, first 2 shown]
	v_accvgpr_write_b32 a173, v157
	v_lshlrev_b32_e32 v60, 6, v88
	v_accvgpr_write_b32 a172, v156
	v_accvgpr_write_b32 a171, v155
	;; [unrolled: 1-line block ×3, first 2 shown]
	ds_read_b128 v[28:31], v148
	ds_read_b128 v[24:27], v148 offset:272
	ds_read_b128 v[0:3], v148 offset:2720
	ds_read_b128 v[4:7], v148 offset:2992
	global_load_dwordx4 v[236:239], v8, s[0:1] offset:1136
	global_load_dwordx4 v[132:135], v8, s[0:1] offset:1120
	ds_read_b128 v[8:11], v148 offset:5440
	ds_read_b128 v[12:15], v148 offset:5712
	ds_read_b128 v[16:19], v148 offset:1632
	ds_read_b128 v[20:23], v148 offset:1904
	ds_read_b128 v[32:35], v148 offset:4352
	ds_read_b128 v[36:39], v148 offset:4624
	global_load_dwordx4 v[140:143], v60, s[0:1] offset:1104
	global_load_dwordx4 v[156:159], v60, s[0:1] offset:1088
	ds_read_b128 v[40:43], v148 offset:3264
	ds_read_b128 v[44:47], v148 offset:3536
	ds_read_b128 v[48:51], v148 offset:5984
	;; [unrolled: 8-line block ×3, first 2 shown]
	ds_read_b128 v[84:87], v148 offset:3808
	ds_read_b128 v[88:91], v148 offset:4896
	;; [unrolled: 1-line block ×5, first 2 shown]
	v_lshl_add_u32 v150, v234, 4, v160
	s_movk_i32 s0, 0x1000
	s_waitcnt vmcnt(19) lgkmcnt(9)
	v_mul_f64 v[68:69], v[58:59], v[178:179]
	v_fma_f64 v[68:69], v[56:57], v[176:177], -v[68:69]
	v_mul_f64 v[56:57], v[56:57], v[178:179]
	v_fmac_f64_e32 v[56:57], v[58:59], v[176:177]
	s_waitcnt vmcnt(18)
	v_mul_f64 v[58:59], v[2:3], v[174:175]
	v_fma_f64 v[58:59], v[0:1], v[172:173], -v[58:59]
	v_mul_f64 v[108:109], v[0:1], v[174:175]
	s_waitcnt vmcnt(17) lgkmcnt(5)
	v_mul_f64 v[0:1], v[66:67], v[170:171]
	v_fma_f64 v[110:111], v[64:65], v[168:169], -v[0:1]
	s_waitcnt vmcnt(16)
	v_mul_f64 v[0:1], v[10:11], v[166:167]
	v_fma_f64 v[112:113], v[8:9], v[164:165], -v[0:1]
	s_waitcnt vmcnt(15)
	;; [unrolled: 3-line block ×5, first 2 shown]
	v_mul_f64 v[0:1], v[14:15], v[182:183]
	v_mul_f64 v[64:65], v[64:65], v[170:171]
	;; [unrolled: 1-line block ×3, first 2 shown]
	v_fma_f64 v[128:129], v[12:13], v[180:181], -v[0:1]
	s_waitcnt vmcnt(11)
	v_mul_f64 v[0:1], v[22:23], v[232:233]
	s_waitcnt vmcnt(6)
	v_mul_f64 v[8:9], v[46:47], v[100:101]
	v_fmac_f64_e32 v[64:65], v[66:67], v[168:169]
	v_mul_f64 v[126:127], v[32:33], v[202:203]
	v_fma_f64 v[66:67], v[20:21], v[230:231], -v[0:1]
	v_mul_f64 v[0:1], v[20:21], v[232:233]
	v_fma_f64 v[20:21], v[44:45], v[98:99], -v[8:9]
	v_mul_f64 v[8:9], v[44:45], v[100:101]
	v_accvgpr_write_b32 a129, v101
	s_waitcnt vmcnt(3) lgkmcnt(4)
	v_mul_f64 v[32:33], v[86:87], v[142:143]
	v_accvgpr_write_b32 a128, v100
	v_accvgpr_write_b32 a127, v99
	;; [unrolled: 1-line block ×3, first 2 shown]
	v_fmac_f64_e32 v[8:9], v[46:47], v[98:99]
	v_fma_f64 v[98:99], v[84:85], v[140:141], -v[32:33]
	s_waitcnt vmcnt(0) lgkmcnt(2)
	v_mul_f64 v[32:33], v[96:97], v[154:155]
	v_mul_f64 v[122:123], v[4:5], v[206:207]
	v_fma_f64 v[100:101], v[94:95], v[152:153], -v[32:33]
	s_waitcnt lgkmcnt(1)
	v_mul_f64 v[32:33], v[106:107], v[146:147]
	v_fmac_f64_e32 v[108:109], v[2:3], v[172:173]
	v_fmac_f64_e32 v[114:115], v[10:11], v[164:165]
	;; [unrolled: 1-line block ×3, first 2 shown]
	v_mul_f64 v[2:3], v[42:43], v[228:229]
	v_mul_f64 v[6:7], v[36:37], v[218:219]
	v_fma_f64 v[102:103], v[104:105], v[144:145], -v[32:33]
	v_add_f64 v[32:33], v[58:59], v[110:111]
	v_fma_f64 v[76:77], v[40:41], v[226:227], -v[2:3]
	v_mul_f64 v[2:3], v[38:39], v[218:219]
	v_fmac_f64_e32 v[6:7], v[38:39], v[216:217]
	v_fma_f64 v[32:33], -0.5, v[32:33], v[28:29]
	v_add_f64 v[38:39], v[56:57], -v[114:115]
	v_fmac_f64_e32 v[126:127], v[34:35], v[200:201]
	v_mul_f64 v[4:5], v[40:41], v[228:229]
	v_fma_f64 v[80:81], v[36:37], v[216:217], -v[2:3]
	v_mul_f64 v[92:93], v[84:85], v[142:143]
	v_add_f64 v[34:35], v[68:69], -v[58:59]
	v_add_f64 v[36:37], v[112:113], -v[110:111]
	;; [unrolled: 1-line block ×3, first 2 shown]
	v_fma_f64 v[84:85], s[8:9], v[38:39], v[32:33]
	v_fmac_f64_e32 v[32:33], s[16:17], v[38:39]
	v_add_f64 v[34:35], v[34:35], v[36:37]
	v_fmac_f64_e32 v[84:85], s[12:13], v[40:41]
	v_fmac_f64_e32 v[32:33], s[18:19], v[40:41]
	v_add_f64 v[36:37], v[68:69], v[112:113]
	v_fmac_f64_e32 v[4:5], v[42:43], v[226:227]
	v_fmac_f64_e32 v[84:85], s[14:15], v[34:35]
	;; [unrolled: 1-line block ×3, first 2 shown]
	v_add_f64 v[34:35], v[28:29], v[68:69]
	v_fmac_f64_e32 v[28:29], -0.5, v[36:37]
	v_add_f64 v[36:37], v[58:59], -v[68:69]
	v_add_f64 v[42:43], v[110:111], -v[112:113]
	v_add_f64 v[42:43], v[36:37], v[42:43]
	v_fma_f64 v[36:37], s[16:17], v[40:41], v[28:29]
	v_fmac_f64_e32 v[28:29], s[8:9], v[40:41]
	v_add_f64 v[34:35], v[34:35], v[58:59]
	v_mul_f64 v[10:11], v[90:91], v[134:135]
	v_fmac_f64_e32 v[36:37], s[12:13], v[38:39]
	v_fmac_f64_e32 v[28:29], s[18:19], v[38:39]
	v_add_f64 v[34:35], v[34:35], v[110:111]
	v_add_f64 v[38:39], v[30:31], v[56:57]
	v_mul_f64 v[130:131], v[12:13], v[182:183]
	v_fmac_f64_e32 v[0:1], v[22:23], v[230:231]
	v_fma_f64 v[22:23], v[88:89], v[132:133], -v[10:11]
	v_mul_f64 v[12:13], v[88:89], v[134:135]
	v_add_f64 v[38:39], v[38:39], v[108:109]
	v_add_f64 v[88:89], v[34:35], v[112:113]
	;; [unrolled: 1-line block ×4, first 2 shown]
	v_fma_f64 v[34:35], -0.5, v[34:35], v[30:31]
	v_add_f64 v[40:41], v[68:69], -v[112:113]
	v_fmac_f64_e32 v[12:13], v[90:91], v[132:133]
	v_fmac_f64_e32 v[92:93], v[86:87], v[140:141]
	;; [unrolled: 1-line block ×4, first 2 shown]
	v_add_f64 v[90:91], v[38:39], v[114:115]
	v_add_f64 v[42:43], v[58:59], -v[110:111]
	v_add_f64 v[38:39], v[56:57], -v[108:109]
	;; [unrolled: 1-line block ×3, first 2 shown]
	v_fma_f64 v[86:87], s[16:17], v[40:41], v[34:35]
	v_fmac_f64_e32 v[34:35], s[8:9], v[40:41]
	v_add_f64 v[38:39], v[38:39], v[44:45]
	v_fmac_f64_e32 v[86:87], s[18:19], v[42:43]
	v_fmac_f64_e32 v[34:35], s[12:13], v[42:43]
	;; [unrolled: 1-line block ×4, first 2 shown]
	v_add_f64 v[38:39], v[56:57], v[114:115]
	v_fmac_f64_e32 v[30:31], -0.5, v[38:39]
	v_mul_f64 v[118:119], v[16:17], v[210:211]
	v_add_f64 v[44:45], v[108:109], -v[56:57]
	v_add_f64 v[46:47], v[64:65], -v[114:115]
	v_fma_f64 v[38:39], s[8:9], v[42:43], v[30:31]
	v_fmac_f64_e32 v[30:31], s[16:17], v[42:43]
	v_fmac_f64_e32 v[118:119], v[18:19], v[208:209]
	v_fmac_f64_e32 v[130:131], v[14:15], v[180:181]
	v_fmac_f64_e32 v[38:39], s[18:19], v[40:41]
	v_add_f64 v[44:45], v[44:45], v[46:47]
	v_fmac_f64_e32 v[30:31], s[12:13], v[40:41]
	v_add_f64 v[40:41], v[120:121], v[124:125]
	v_mul_f64 v[70:71], v[48:49], v[214:215]
	v_fmac_f64_e32 v[38:39], s[14:15], v[44:45]
	v_fmac_f64_e32 v[30:31], s[14:15], v[44:45]
	v_fma_f64 v[40:41], -0.5, v[40:41], v[24:25]
	v_add_f64 v[42:43], v[116:117], -v[120:121]
	v_add_f64 v[44:45], v[128:129], -v[124:125]
	;; [unrolled: 1-line block ×3, first 2 shown]
	v_mul_f64 v[2:3], v[50:51], v[214:215]
	v_fmac_f64_e32 v[70:71], v[50:51], v[212:213]
	v_add_f64 v[42:43], v[42:43], v[44:45]
	v_add_f64 v[50:51], v[122:123], -v[126:127]
	v_fma_f64 v[44:45], s[8:9], v[46:47], v[40:41]
	v_fmac_f64_e32 v[40:41], s[16:17], v[46:47]
	v_fma_f64 v[82:83], v[48:49], v[212:213], -v[2:3]
	v_mul_f64 v[10:11], v[54:55], v[238:239]
	v_fmac_f64_e32 v[44:45], s[12:13], v[50:51]
	v_fmac_f64_e32 v[40:41], s[18:19], v[50:51]
	v_add_f64 v[48:49], v[116:117], v[128:129]
	v_fma_f64 v[78:79], v[52:53], v[236:237], -v[10:11]
	v_mul_f64 v[14:15], v[52:53], v[238:239]
	v_fmac_f64_e32 v[44:45], s[14:15], v[42:43]
	v_fmac_f64_e32 v[40:41], s[14:15], v[42:43]
	v_add_f64 v[42:43], v[24:25], v[116:117]
	v_fmac_f64_e32 v[24:25], -0.5, v[48:49]
	v_add_f64 v[48:49], v[120:121], -v[116:117]
	v_add_f64 v[52:53], v[124:125], -v[128:129]
	v_add_f64 v[52:53], v[48:49], v[52:53]
	v_fma_f64 v[48:49], s[16:17], v[50:51], v[24:25]
	v_fmac_f64_e32 v[24:25], s[8:9], v[50:51]
	v_fmac_f64_e32 v[48:49], s[12:13], v[46:47]
	;; [unrolled: 1-line block ×3, first 2 shown]
	v_add_f64 v[42:43], v[42:43], v[120:121]
	v_add_f64 v[46:47], v[26:27], v[118:119]
	v_mul_f64 v[2:3], v[62:63], v[138:139]
	v_add_f64 v[42:43], v[42:43], v[124:125]
	v_add_f64 v[46:47], v[46:47], v[122:123]
	v_fma_f64 v[16:17], v[60:61], v[136:137], -v[2:3]
	v_mul_f64 v[2:3], v[60:61], v[138:139]
	v_add_f64 v[46:47], v[46:47], v[126:127]
	v_add_f64 v[60:61], v[42:43], v[128:129]
	;; [unrolled: 1-line block ×3, first 2 shown]
	v_fmac_f64_e32 v[2:3], v[62:63], v[136:137]
	v_fmac_f64_e32 v[48:49], s[14:15], v[52:53]
	;; [unrolled: 1-line block ×3, first 2 shown]
	v_add_f64 v[62:63], v[46:47], v[130:131]
	v_fma_f64 v[42:43], -0.5, v[42:43], v[26:27]
	v_add_f64 v[52:53], v[116:117], -v[128:129]
	v_add_f64 v[46:47], v[118:119], -v[122:123]
	;; [unrolled: 1-line block ×3, first 2 shown]
	v_fmac_f64_e32 v[14:15], v[54:55], v[236:237]
	v_add_f64 v[54:55], v[120:121], -v[124:125]
	v_add_f64 v[50:51], v[46:47], v[50:51]
	v_fma_f64 v[46:47], s[16:17], v[52:53], v[42:43]
	v_fmac_f64_e32 v[42:43], s[8:9], v[52:53]
	v_fmac_f64_e32 v[46:47], s[18:19], v[54:55]
	;; [unrolled: 1-line block ×5, first 2 shown]
	v_add_f64 v[50:51], v[118:119], v[130:131]
	v_fmac_f64_e32 v[26:27], -0.5, v[50:51]
	v_add_f64 v[56:57], v[122:123], -v[118:119]
	v_add_f64 v[58:59], v[126:127], -v[130:131]
	v_fma_f64 v[50:51], s[8:9], v[54:55], v[26:27]
	v_fmac_f64_e32 v[26:27], s[16:17], v[54:55]
	v_fmac_f64_e32 v[50:51], s[18:19], v[52:53]
	v_add_f64 v[56:57], v[56:57], v[58:59]
	v_fmac_f64_e32 v[26:27], s[12:13], v[52:53]
	v_fmac_f64_e32 v[50:51], s[14:15], v[56:57]
	;; [unrolled: 1-line block ×3, first 2 shown]
	ds_read_b128 v[56:59], v148 offset:544
	v_add_f64 v[52:53], v[66:67], -v[76:77]
	v_add_f64 v[54:55], v[82:83], -v[80:81]
	v_mul_f64 v[10:11], v[74:75], v[158:159]
	v_add_f64 v[54:55], v[52:53], v[54:55]
	v_add_f64 v[52:53], v[76:77], v[80:81]
	v_fma_f64 v[10:11], v[72:73], v[156:157], -v[10:11]
	v_mul_f64 v[18:19], v[72:73], v[158:159]
	s_waitcnt lgkmcnt(0)
	v_fma_f64 v[52:53], -0.5, v[52:53], v[56:57]
	v_add_f64 v[72:73], v[0:1], -v[70:71]
	v_fmac_f64_e32 v[18:19], v[74:75], v[156:157]
	v_add_f64 v[74:75], v[4:5], -v[6:7]
	v_fma_f64 v[64:65], s[8:9], v[72:73], v[52:53]
	v_fmac_f64_e32 v[52:53], s[16:17], v[72:73]
	v_mul_f64 v[94:95], v[94:95], v[154:155]
	v_fmac_f64_e32 v[64:65], s[12:13], v[74:75]
	v_fmac_f64_e32 v[52:53], s[18:19], v[74:75]
	v_add_f64 v[68:69], v[66:67], v[82:83]
	v_fmac_f64_e32 v[94:95], v[96:97], v[152:153]
	v_mul_f64 v[96:97], v[104:105], v[146:147]
	v_fmac_f64_e32 v[64:65], s[14:15], v[54:55]
	v_fmac_f64_e32 v[52:53], s[14:15], v[54:55]
	v_add_f64 v[54:55], v[56:57], v[66:67]
	v_fmac_f64_e32 v[56:57], -0.5, v[68:69]
	v_add_f64 v[68:69], v[76:77], -v[66:67]
	v_add_f64 v[104:105], v[80:81], -v[82:83]
	v_add_f64 v[104:105], v[68:69], v[104:105]
	v_fma_f64 v[68:69], s[16:17], v[74:75], v[56:57]
	v_fmac_f64_e32 v[56:57], s[8:9], v[74:75]
	v_fmac_f64_e32 v[68:69], s[12:13], v[72:73]
	;; [unrolled: 1-line block ×3, first 2 shown]
	v_add_f64 v[54:55], v[54:55], v[76:77]
	v_add_f64 v[72:73], v[58:59], v[0:1]
	;; [unrolled: 1-line block ×7, first 2 shown]
	v_fma_f64 v[54:55], -0.5, v[54:55], v[58:59]
	v_add_f64 v[82:83], v[66:67], -v[82:83]
	v_add_f64 v[76:77], v[76:77], -v[80:81]
	;; [unrolled: 1-line block ×4, first 2 shown]
	v_add_f64 v[80:81], v[66:67], v[80:81]
	v_fma_f64 v[66:67], s[16:17], v[82:83], v[54:55]
	v_fmac_f64_e32 v[54:55], s[8:9], v[82:83]
	v_fmac_f64_e32 v[66:67], s[18:19], v[76:77]
	;; [unrolled: 1-line block ×5, first 2 shown]
	v_add_f64 v[80:81], v[0:1], v[70:71]
	v_fmac_f64_e32 v[58:59], -0.5, v[80:81]
	v_add_f64 v[74:75], v[74:75], v[70:71]
	v_add_f64 v[0:1], v[4:5], -v[0:1]
	v_add_f64 v[4:5], v[6:7], -v[70:71]
	v_fma_f64 v[70:71], s[8:9], v[76:77], v[58:59]
	v_fmac_f64_e32 v[58:59], s[16:17], v[76:77]
	v_add_f64 v[0:1], v[0:1], v[4:5]
	v_fmac_f64_e32 v[70:71], s[18:19], v[82:83]
	v_fmac_f64_e32 v[58:59], s[12:13], v[82:83]
	;; [unrolled: 1-line block ×4, first 2 shown]
	v_add_f64 v[0:1], v[16:17], -v[20:21]
	v_add_f64 v[4:5], v[78:79], -v[22:23]
	v_add_f64 v[0:1], v[0:1], v[4:5]
	v_add_f64 v[4:5], v[20:21], v[22:23]
	v_fma_f64 v[4:5], -0.5, v[4:5], v[252:253]
	v_add_f64 v[6:7], v[2:3], -v[14:15]
	v_add_f64 v[80:81], v[8:9], -v[12:13]
	v_fma_f64 v[76:77], s[8:9], v[6:7], v[4:5]
	v_fmac_f64_e32 v[4:5], s[16:17], v[6:7]
	v_fmac_f64_e32 v[76:77], s[12:13], v[80:81]
	;; [unrolled: 1-line block ×5, first 2 shown]
	v_add_f64 v[0:1], v[16:17], v[78:79]
	v_fmac_f64_e32 v[68:69], s[14:15], v[104:105]
	v_fmac_f64_e32 v[56:57], s[14:15], v[104:105]
	v_add_f64 v[82:83], v[252:253], v[16:17]
	v_fmac_f64_e32 v[252:253], -0.5, v[0:1]
	v_add_f64 v[0:1], v[20:21], -v[16:17]
	v_add_f64 v[104:105], v[22:23], -v[78:79]
	v_add_f64 v[104:105], v[0:1], v[104:105]
	v_fma_f64 v[0:1], s[16:17], v[80:81], v[252:253]
	v_fmac_f64_e32 v[252:253], s[8:9], v[80:81]
	v_fmac_f64_e32 v[0:1], s[12:13], v[6:7]
	v_fmac_f64_e32 v[252:253], s[18:19], v[6:7]
	v_add_f64 v[6:7], v[82:83], v[20:21]
	v_add_f64 v[80:81], v[254:255], v[2:3]
	;; [unrolled: 1-line block ×7, first 2 shown]
	v_fma_f64 v[6:7], -0.5, v[6:7], v[254:255]
	v_add_f64 v[16:17], v[16:17], -v[78:79]
	v_add_f64 v[20:21], v[20:21], -v[22:23]
	;; [unrolled: 1-line block ×4, first 2 shown]
	v_add_f64 v[22:23], v[22:23], v[78:79]
	v_fma_f64 v[78:79], s[16:17], v[16:17], v[6:7]
	v_fmac_f64_e32 v[6:7], s[8:9], v[16:17]
	v_fmac_f64_e32 v[78:79], s[18:19], v[20:21]
	v_fmac_f64_e32 v[6:7], s[12:13], v[20:21]
	v_fmac_f64_e32 v[78:79], s[14:15], v[22:23]
	v_fmac_f64_e32 v[6:7], s[14:15], v[22:23]
	v_add_f64 v[22:23], v[2:3], v[14:15]
	v_fmac_f64_e32 v[254:255], -0.5, v[22:23]
	v_add_f64 v[2:3], v[8:9], -v[2:3]
	v_add_f64 v[8:9], v[12:13], -v[14:15]
	v_add_f64 v[8:9], v[2:3], v[8:9]
	v_fma_f64 v[2:3], s[8:9], v[20:21], v[254:255]
	v_fmac_f64_e32 v[254:255], s[16:17], v[20:21]
	v_fmac_f64_e32 v[2:3], s[18:19], v[16:17]
	;; [unrolled: 1-line block ×5, first 2 shown]
	v_add_f64 v[8:9], v[10:11], -v[98:99]
	v_add_f64 v[12:13], v[102:103], -v[100:101]
	v_fmac_f64_e32 v[96:97], v[106:107], v[144:145]
	v_add_f64 v[12:13], v[8:9], v[12:13]
	v_add_f64 v[8:9], v[98:99], v[100:101]
	v_add_f64 v[82:83], v[82:83], v[14:15]
	v_fma_f64 v[20:21], -0.5, v[8:9], v[248:249]
	v_add_f64 v[14:15], v[18:19], -v[96:97]
	v_add_f64 v[22:23], v[92:93], -v[94:95]
	v_fma_f64 v[8:9], s[8:9], v[14:15], v[20:21]
	v_fmac_f64_e32 v[20:21], s[16:17], v[14:15]
	v_fmac_f64_e32 v[8:9], s[12:13], v[22:23]
	;; [unrolled: 1-line block ×5, first 2 shown]
	v_add_f64 v[12:13], v[248:249], v[10:11]
	v_add_f64 v[16:17], v[10:11], v[102:103]
	v_fmac_f64_e32 v[0:1], s[14:15], v[104:105]
	v_fmac_f64_e32 v[252:253], s[14:15], v[104:105]
	v_fmac_f64_e32 v[248:249], -0.5, v[16:17]
	v_add_f64 v[16:17], v[98:99], -v[10:11]
	v_add_f64 v[104:105], v[100:101], -v[102:103]
	v_add_f64 v[12:13], v[12:13], v[98:99]
	v_add_f64 v[104:105], v[16:17], v[104:105]
	v_fma_f64 v[16:17], s[16:17], v[22:23], v[248:249]
	v_fmac_f64_e32 v[248:249], s[8:9], v[22:23]
	v_add_f64 v[12:13], v[12:13], v[100:101]
	v_add_f64 v[22:23], v[92:93], v[94:95]
	;; [unrolled: 1-line block ×3, first 2 shown]
	v_fma_f64 v[22:23], -0.5, v[22:23], v[250:251]
	v_add_f64 v[102:103], v[10:11], -v[102:103]
	v_add_f64 v[98:99], v[98:99], -v[100:101]
	;; [unrolled: 1-line block ×4, first 2 shown]
	v_add_f64 v[100:101], v[10:11], v[100:101]
	v_fma_f64 v[10:11], s[16:17], v[102:103], v[22:23]
	v_fmac_f64_e32 v[22:23], s[8:9], v[102:103]
	v_fmac_f64_e32 v[10:11], s[18:19], v[98:99]
	;; [unrolled: 1-line block ×5, first 2 shown]
	v_add_f64 v[14:15], v[250:251], v[18:19]
	v_fmac_f64_e32 v[10:11], s[14:15], v[100:101]
	v_fmac_f64_e32 v[22:23], s[14:15], v[100:101]
	v_add_f64 v[100:101], v[18:19], v[96:97]
	v_add_f64 v[14:15], v[14:15], v[92:93]
	v_fmac_f64_e32 v[250:251], -0.5, v[100:101]
	v_add_f64 v[18:19], v[92:93], -v[18:19]
	v_add_f64 v[92:93], v[94:95], -v[96:97]
	v_add_f64 v[92:93], v[18:19], v[92:93]
	v_fma_f64 v[18:19], s[8:9], v[98:99], v[250:251]
	v_fmac_f64_e32 v[250:251], s[16:17], v[98:99]
	v_add_f64 v[14:15], v[14:15], v[94:95]
	v_fmac_f64_e32 v[18:19], s[18:19], v[102:103]
	v_fmac_f64_e32 v[250:251], s[12:13], v[102:103]
	s_add_u32 s8, s2, 0x1a90
	v_fmac_f64_e32 v[16:17], s[14:15], v[104:105]
	v_fmac_f64_e32 v[248:249], s[14:15], v[104:105]
	v_add_f64 v[14:15], v[14:15], v[96:97]
	v_fmac_f64_e32 v[18:19], s[14:15], v[92:93]
	v_fmac_f64_e32 v[250:251], s[14:15], v[92:93]
	s_addc_u32 s9, s3, 0
	ds_write_b128 v148, v[88:91]
	ds_write_b128 v150, v[84:87] offset:1360
	ds_write_b128 v150, v[36:39] offset:2720
	;; [unrolled: 1-line block ×24, first 2 shown]
	v_lshlrev_b32_e32 v64, 4, v234
	s_waitcnt lgkmcnt(0)
	; wave barrier
	s_waitcnt lgkmcnt(0)
	global_load_dwordx4 v[60:63], v64, s[8:9]
	global_load_dwordx4 v[52:55], v64, s[8:9] offset:400
	global_load_dwordx4 v[48:51], v64, s[8:9] offset:800
	;; [unrolled: 1-line block ×8, first 2 shown]
	ds_read_b128 v[66:69], v148
	ds_read_b128 v[72:75], v148 offset:400
	global_load_dwordx4 v[56:59], v64, s[8:9] offset:3600
	v_mov_b32_e32 v65, 0
	v_lshl_add_u64 v[70:71], s[8:9], 0, v[64:65]
	ds_read_b128 v[84:87], v148 offset:800
	v_accvgpr_write_b32 a134, v136
	v_accvgpr_write_b32 a130, v132
	;; [unrolled: 1-line block ×24, first 2 shown]
	s_waitcnt vmcnt(9) lgkmcnt(2)
	v_mul_f64 v[76:77], v[68:69], v[62:63]
	v_mul_f64 v[78:79], v[66:67], v[62:63]
	v_fma_f64 v[76:77], v[66:67], v[60:61], -v[76:77]
	v_fmac_f64_e32 v[78:79], v[68:69], v[60:61]
	global_load_dwordx4 v[60:63], v64, s[8:9] offset:4000
	v_add_co_u32_e64 v68, s[0:1], s0, v70
	s_waitcnt vmcnt(9) lgkmcnt(1)
	v_mul_f64 v[80:81], v[74:75], v[54:55]
	v_addc_co_u32_e64 v69, s[0:1], 0, v71, s[0:1]
	global_load_dwordx4 v[64:67], v[68:69], off offset:304
	v_mul_f64 v[82:83], v[72:73], v[54:55]
	v_fma_f64 v[80:81], v[72:73], v[52:53], -v[80:81]
	v_fmac_f64_e32 v[82:83], v[74:75], v[52:53]
	global_load_dwordx4 v[72:75], v[68:69], off offset:704
	ds_read_b128 v[52:55], v148 offset:1200
	s_waitcnt vmcnt(10) lgkmcnt(1)
	v_mul_f64 v[88:89], v[86:87], v[50:51]
	v_mul_f64 v[90:91], v[84:85], v[50:51]
	v_fma_f64 v[88:89], v[84:85], v[48:49], -v[88:89]
	v_fmac_f64_e32 v[90:91], v[86:87], v[48:49]
	global_load_dwordx4 v[48:51], v[68:69], off offset:1104
	s_waitcnt vmcnt(10) lgkmcnt(0)
	v_mul_f64 v[84:85], v[54:55], v[42:43]
	v_mul_f64 v[86:87], v[52:53], v[42:43]
	v_fma_f64 v[84:85], v[52:53], v[40:41], -v[84:85]
	v_fmac_f64_e32 v[86:87], v[54:55], v[40:41]
	global_load_dwordx4 v[40:43], v[68:69], off offset:1504
	global_load_dwordx4 v[52:55], v[68:69], off offset:1904
	ds_write_b128 v148, v[76:79]
	global_load_dwordx4 v[76:79], v[68:69], off offset:2304
	ds_write_b128 v148, v[80:83] offset:400
	ds_read_b128 v[80:83], v148 offset:1600
	ds_write_b128 v148, v[88:91] offset:800
	ds_write_b128 v148, v[84:87] offset:1200
	ds_read_b128 v[84:87], v148 offset:2000
	s_waitcnt vmcnt(12) lgkmcnt(3)
	v_mul_f64 v[88:89], v[82:83], v[26:27]
	v_mul_f64 v[90:91], v[80:81], v[26:27]
	v_fma_f64 v[88:89], v[80:81], v[24:25], -v[88:89]
	v_fmac_f64_e32 v[90:91], v[82:83], v[24:25]
	ds_read_b128 v[80:83], v148 offset:2400
	s_waitcnt vmcnt(11) lgkmcnt(1)
	v_mul_f64 v[24:25], v[86:87], v[30:31]
	v_mul_f64 v[26:27], v[84:85], v[30:31]
	v_fma_f64 v[24:25], v[84:85], v[28:29], -v[24:25]
	v_fmac_f64_e32 v[26:27], v[86:87], v[28:29]
	ds_write_b128 v148, v[24:27] offset:2000
	ds_read_b128 v[24:27], v148 offset:2800
	s_waitcnt vmcnt(10) lgkmcnt(2)
	v_mul_f64 v[28:29], v[82:83], v[34:35]
	v_mul_f64 v[30:31], v[80:81], v[34:35]
	v_fma_f64 v[28:29], v[80:81], v[32:33], -v[28:29]
	v_fmac_f64_e32 v[30:31], v[82:83], v[32:33]
	ds_read_b128 v[32:35], v148 offset:3200
	ds_write_b128 v148, v[28:31] offset:2400
	s_waitcnt vmcnt(9) lgkmcnt(2)
	v_mul_f64 v[28:29], v[26:27], v[38:39]
	v_mul_f64 v[30:31], v[24:25], v[38:39]
	v_fma_f64 v[28:29], v[24:25], v[36:37], -v[28:29]
	v_fmac_f64_e32 v[30:31], v[26:27], v[36:37]
	ds_read_b128 v[24:27], v148 offset:3600
	ds_write_b128 v148, v[28:31] offset:2800
	;; [unrolled: 7-line block ×4, first 2 shown]
	ds_write_b128 v148, v[88:91] offset:1600
	s_waitcnt vmcnt(6) lgkmcnt(4)
	v_mul_f64 v[28:29], v[34:35], v[62:63]
	v_mul_f64 v[30:31], v[32:33], v[62:63]
	v_fma_f64 v[28:29], v[32:33], v[60:61], -v[28:29]
	v_fmac_f64_e32 v[30:31], v[34:35], v[60:61]
	ds_read_b128 v[32:35], v148 offset:4800
	ds_write_b128 v148, v[28:31] offset:4000
	s_waitcnt vmcnt(5) lgkmcnt(4)
	v_mul_f64 v[28:29], v[26:27], v[66:67]
	v_mul_f64 v[30:31], v[24:25], v[66:67]
	v_fma_f64 v[28:29], v[24:25], v[64:65], -v[28:29]
	v_fmac_f64_e32 v[30:31], v[26:27], v[64:65]
	ds_read_b128 v[24:27], v148 offset:5200
	;; [unrolled: 7-line block ×3, first 2 shown]
	ds_write_b128 v148, v[28:31] offset:4800
	s_waitcnt vmcnt(3) lgkmcnt(3)
	v_mul_f64 v[28:29], v[26:27], v[50:51]
	v_mul_f64 v[30:31], v[24:25], v[50:51]
	v_fma_f64 v[28:29], v[24:25], v[48:49], -v[28:29]
	v_fmac_f64_e32 v[30:31], v[26:27], v[48:49]
	ds_write_b128 v148, v[28:31] offset:5200
	s_waitcnt vmcnt(2) lgkmcnt(2)
	v_mul_f64 v[28:29], v[34:35], v[42:43]
	v_mul_f64 v[30:31], v[32:33], v[42:43]
	ds_read_b128 v[24:27], v148 offset:6000
	v_fma_f64 v[28:29], v[32:33], v[40:41], -v[28:29]
	v_fmac_f64_e32 v[30:31], v[34:35], v[40:41]
	ds_write_b128 v148, v[28:31] offset:5600
	ds_read_b128 v[28:31], v148 offset:6400
	s_waitcnt vmcnt(1) lgkmcnt(2)
	v_mul_f64 v[32:33], v[26:27], v[54:55]
	v_mul_f64 v[34:35], v[24:25], v[54:55]
	v_fma_f64 v[32:33], v[24:25], v[52:53], -v[32:33]
	v_fmac_f64_e32 v[34:35], v[26:27], v[52:53]
	s_waitcnt vmcnt(0) lgkmcnt(0)
	v_mul_f64 v[24:25], v[30:31], v[78:79]
	v_mul_f64 v[26:27], v[28:29], v[78:79]
	v_fma_f64 v[24:25], v[28:29], v[76:77], -v[24:25]
	v_fmac_f64_e32 v[26:27], v[30:31], v[76:77]
	ds_write_b128 v148, v[32:35] offset:6000
	ds_write_b128 v148, v[24:27] offset:6400
	s_and_saveexec_b64 s[0:1], vcc
	s_cbranch_execz .LBB0_9
; %bb.8:
	global_load_dwordx4 v[28:31], v[70:71], off offset:272
	ds_read_b128 v[24:27], v150 offset:272
	s_waitcnt vmcnt(0) lgkmcnt(0)
	v_mul_f64 v[32:33], v[26:27], v[30:31]
	v_mul_f64 v[34:35], v[24:25], v[30:31]
	v_fma_f64 v[32:33], v[24:25], v[28:29], -v[32:33]
	v_fmac_f64_e32 v[34:35], v[26:27], v[28:29]
	global_load_dwordx4 v[28:31], v[70:71], off offset:672
	ds_write_b128 v150, v[32:35] offset:272
	ds_read_b128 v[24:27], v148 offset:672
	s_waitcnt vmcnt(0) lgkmcnt(0)
	v_mul_f64 v[32:33], v[26:27], v[30:31]
	v_mul_f64 v[34:35], v[24:25], v[30:31]
	v_fma_f64 v[32:33], v[24:25], v[28:29], -v[32:33]
	v_fmac_f64_e32 v[34:35], v[26:27], v[28:29]
	global_load_dwordx4 v[28:31], v[70:71], off offset:1072
	ds_read_b128 v[24:27], v148 offset:1072
	ds_write_b128 v148, v[32:35] offset:672
	s_waitcnt vmcnt(0) lgkmcnt(1)
	v_mul_f64 v[32:33], v[26:27], v[30:31]
	v_mul_f64 v[34:35], v[24:25], v[30:31]
	v_fma_f64 v[32:33], v[24:25], v[28:29], -v[32:33]
	v_fmac_f64_e32 v[34:35], v[26:27], v[28:29]
	global_load_dwordx4 v[28:31], v[70:71], off offset:1472
	ds_read_b128 v[24:27], v148 offset:1472
	ds_write_b128 v148, v[32:35] offset:1072
	;; [unrolled: 8-line block ×13, first 2 shown]
	s_waitcnt vmcnt(0) lgkmcnt(1)
	v_mul_f64 v[32:33], v[26:27], v[30:31]
	v_mul_f64 v[34:35], v[24:25], v[30:31]
	v_fma_f64 v[32:33], v[24:25], v[28:29], -v[32:33]
	v_fmac_f64_e32 v[34:35], v[26:27], v[28:29]
	v_mov_b32_e32 v28, 0x1880
	v_lshl_or_b32 v28, v234, 4, v28
	global_load_dwordx4 v[28:31], v28, s[8:9]
	ds_read_b128 v[24:27], v148 offset:6272
	ds_write_b128 v148, v[32:35] offset:5872
	s_waitcnt vmcnt(0) lgkmcnt(1)
	v_mul_f64 v[32:33], v[26:27], v[30:31]
	v_mul_f64 v[34:35], v[24:25], v[30:31]
	v_fma_f64 v[32:33], v[24:25], v[28:29], -v[32:33]
	v_fmac_f64_e32 v[34:35], v[26:27], v[28:29]
	global_load_dwordx4 v[28:31], v[68:69], off offset:2576
	ds_read_b128 v[24:27], v148 offset:6672
	ds_write_b128 v148, v[32:35] offset:6272
	s_waitcnt vmcnt(0) lgkmcnt(1)
	v_mul_f64 v[32:33], v[26:27], v[30:31]
	v_mul_f64 v[34:35], v[24:25], v[30:31]
	v_fma_f64 v[32:33], v[24:25], v[28:29], -v[32:33]
	v_fmac_f64_e32 v[34:35], v[26:27], v[28:29]
	ds_write_b128 v148, v[32:35] offset:6672
.LBB0_9:
	s_or_b64 exec, exec, s[0:1]
	s_waitcnt lgkmcnt(0)
	; wave barrier
	s_waitcnt lgkmcnt(0)
	ds_read_b128 v[80:83], v148
	ds_read_b128 v[88:91], v148 offset:400
	ds_read_b128 v[76:79], v148 offset:800
	;; [unrolled: 1-line block ×16, first 2 shown]
	s_and_saveexec_b64 s[0:1], vcc
	s_cbranch_execz .LBB0_11
; %bb.10:
	ds_read_b128 v[0:3], v150 offset:272
	ds_read_b128 v[252:255], v150 offset:672
	;; [unrolled: 1-line block ×17, first 2 shown]
.LBB0_11:
	s_or_b64 exec, exec, s[0:1]
	s_waitcnt lgkmcnt(14)
	v_add_f64 v[56:57], v[80:81], v[88:89]
	v_add_f64 v[58:59], v[82:83], v[90:91]
	v_add_f64 v[56:57], v[56:57], v[76:77]
	v_add_f64 v[58:59], v[58:59], v[78:79]
	s_waitcnt lgkmcnt(13)
	v_add_f64 v[56:57], v[56:57], v[68:69]
	v_add_f64 v[58:59], v[58:59], v[70:71]
	s_waitcnt lgkmcnt(12)
	v_add_f64 v[56:57], v[56:57], v[60:61]
	v_add_f64 v[58:59], v[58:59], v[62:63]
	;; [unrolled: 3-line block ×11, first 2 shown]
	s_waitcnt lgkmcnt(2)
	v_add_f64 v[56:57], v[56:57], v[72:73]
	s_mov_b32 s12, 0x5d8e7cdc
	s_mov_b32 s16, 0x2a9d6da3
	s_mov_b32 s20, 0x7c9e640b
	s_mov_b32 s24, 0xeb564b22
	s_mov_b32 s28, 0x923c349f
	s_mov_b32 s36, 0x6c9a05f6
	s_mov_b32 s40, 0x4363dd80
	s_mov_b32 s44, 0xacd6c6b4
	v_add_f64 v[58:59], v[58:59], v[74:75]
	s_waitcnt lgkmcnt(1)
	v_add_f64 v[56:57], v[56:57], v[84:85]
	s_waitcnt lgkmcnt(0)
	v_add_f64 v[98:99], v[90:91], v[94:95]
	v_add_f64 v[90:91], v[90:91], -v[94:95]
	s_mov_b32 s13, 0xbfd71e95
	s_mov_b32 s0, 0x370991
	s_mov_b32 s17, 0xbfe58eea
	s_mov_b32 s8, 0x75d4884
	s_mov_b32 s21, 0xbfeca52d
	s_mov_b32 s14, 0x2b2883cd
	s_mov_b32 s25, 0xbfefdd0d
	s_mov_b32 s18, 0x3259b75e
	s_mov_b32 s29, 0xbfeec746
	s_mov_b32 s22, 0xc61f0d01
	s_mov_b32 s37, 0xbfe9895b
	s_mov_b32 s26, 0x6ed5f1bb
	s_mov_b32 s41, 0xbfe0d888
	s_mov_b32 s30, 0x910ea3b9
	s_mov_b32 s45, 0xbfc7851a
	s_mov_b32 s38, 0x7faef3
	v_add_f64 v[58:59], v[58:59], v[86:87]
	v_add_f64 v[56:57], v[56:57], v[92:93]
	;; [unrolled: 1-line block ×3, first 2 shown]
	v_add_f64 v[88:89], v[88:89], -v[92:93]
	v_mul_f64 v[92:93], v[90:91], s[12:13]
	s_mov_b32 s1, 0x3fedd6d0
	v_mul_f64 v[104:105], v[90:91], s[16:17]
	s_mov_b32 s9, 0x3fe7a5f6
	;; [unrolled: 2-line block ×8, first 2 shown]
	v_add_f64 v[58:59], v[58:59], v[94:95]
	v_fma_f64 v[94:95], s[0:1], v[96:97], v[92:93]
	v_fma_f64 v[92:93], v[96:97], s[0:1], -v[92:93]
	v_fma_f64 v[106:107], s[8:9], v[96:97], v[104:105]
	v_fma_f64 v[104:105], v[96:97], s[8:9], -v[104:105]
	;; [unrolled: 2-line block ×8, first 2 shown]
	v_add_f64 v[94:95], v[80:81], v[94:95]
	v_mul_f64 v[100:101], v[98:99], s[0:1]
	s_mov_b32 s35, 0x3fd71e95
	s_mov_b32 s34, s12
	v_add_f64 v[92:93], v[80:81], v[92:93]
	v_add_f64 v[106:107], v[80:81], v[106:107]
	v_mul_f64 v[108:109], v[98:99], s[8:9]
	s_mov_b32 s49, 0x3fe58eea
	s_mov_b32 s48, s16
	v_add_f64 v[104:105], v[80:81], v[104:105]
	;; [unrolled: 5-line block ×5, first 2 shown]
	v_add_f64 v[138:139], v[80:81], v[138:139]
	v_mul_f64 v[144:145], v[98:99], s[26:27]
	s_mov_b32 s54, s36
	v_add_f64 v[136:137], v[80:81], v[136:137]
	v_add_f64 v[142:143], v[80:81], v[142:143]
	v_mul_f64 v[152:153], v[98:99], s[30:31]
	s_mov_b32 s51, 0x3fe0d888
	s_mov_b32 s50, s40
	v_add_f64 v[140:141], v[80:81], v[140:141]
	v_add_f64 v[156:157], v[80:81], v[156:157]
	v_mul_f64 v[98:99], v[98:99], s[38:39]
	s_mov_b32 s53, 0x3fc7851a
	s_mov_b32 s52, s44
	v_add_f64 v[80:81], v[80:81], v[90:91]
	v_add_f64 v[90:91], v[78:79], v[86:87]
	v_add_f64 v[78:79], v[78:79], -v[86:87]
	v_fma_f64 v[102:103], s[34:35], v[88:89], v[100:101]
	v_fmac_f64_e32 v[100:101], s[12:13], v[88:89]
	v_fma_f64 v[110:111], s[48:49], v[88:89], v[108:109]
	v_fmac_f64_e32 v[108:109], s[16:17], v[88:89]
	;; [unrolled: 2-line block ×8, first 2 shown]
	v_add_f64 v[88:89], v[76:77], v[84:85]
	v_add_f64 v[76:77], v[76:77], -v[84:85]
	v_mul_f64 v[84:85], v[78:79], s[16:17]
	v_fma_f64 v[86:87], s[8:9], v[88:89], v[84:85]
	v_add_f64 v[86:87], v[86:87], v[94:95]
	v_mul_f64 v[94:95], v[90:91], s[8:9]
	v_add_f64 v[100:101], v[82:83], v[100:101]
	v_fma_f64 v[96:97], s[48:49], v[76:77], v[94:95]
	v_fma_f64 v[84:85], v[88:89], s[8:9], -v[84:85]
	v_fmac_f64_e32 v[94:95], s[16:17], v[76:77]
	v_add_f64 v[84:85], v[84:85], v[92:93]
	v_add_f64 v[92:93], v[94:95], v[100:101]
	v_mul_f64 v[94:95], v[78:79], s[24:25]
	v_add_f64 v[102:103], v[82:83], v[102:103]
	v_add_f64 v[110:111], v[82:83], v[110:111]
	;; [unrolled: 1-line block ×15, first 2 shown]
	v_fma_f64 v[98:99], s[18:19], v[88:89], v[94:95]
	v_fma_f64 v[94:95], v[88:89], s[18:19], -v[94:95]
	v_add_f64 v[94:95], v[94:95], v[104:105]
	v_mul_f64 v[104:105], v[78:79], s[36:37]
	v_add_f64 v[98:99], v[98:99], v[106:107]
	v_mul_f64 v[100:101], v[90:91], s[18:19]
	v_fma_f64 v[106:107], s[26:27], v[88:89], v[104:105]
	v_fma_f64 v[104:105], v[88:89], s[26:27], -v[104:105]
	v_add_f64 v[96:97], v[96:97], v[102:103]
	v_fma_f64 v[102:103], s[56:57], v[76:77], v[100:101]
	v_fmac_f64_e32 v[100:101], s[24:25], v[76:77]
	v_add_f64 v[104:105], v[104:105], v[112:113]
	v_mul_f64 v[112:113], v[78:79], s[44:45]
	v_add_f64 v[100:101], v[100:101], v[108:109]
	v_add_f64 v[106:107], v[106:107], v[114:115]
	v_mul_f64 v[108:109], v[90:91], s[26:27]
	v_fma_f64 v[114:115], s[38:39], v[88:89], v[112:113]
	v_fma_f64 v[112:113], v[88:89], s[38:39], -v[112:113]
	v_add_f64 v[102:103], v[102:103], v[110:111]
	v_fma_f64 v[110:111], s[54:55], v[76:77], v[108:109]
	v_fmac_f64_e32 v[108:109], s[36:37], v[76:77]
	v_add_f64 v[112:113], v[112:113], v[120:121]
	v_mul_f64 v[120:121], v[78:79], s[50:51]
	v_add_f64 v[108:109], v[108:109], v[116:117]
	;; [unrolled: 10-line block ×4, first 2 shown]
	v_add_f64 v[130:131], v[130:131], v[138:139]
	v_mul_f64 v[132:133], v[90:91], s[22:23]
	v_fma_f64 v[138:139], s[14:15], v[88:89], v[136:137]
	v_add_f64 v[126:127], v[126:127], v[134:135]
	v_fma_f64 v[134:135], s[28:29], v[76:77], v[132:133]
	v_fmac_f64_e32 v[132:133], s[46:47], v[76:77]
	v_add_f64 v[138:139], v[138:139], v[142:143]
	v_mul_f64 v[142:143], v[90:91], s[14:15]
	v_mul_f64 v[90:91], v[90:91], s[0:1]
	v_add_f64 v[134:135], v[134:135], v[146:147]
	v_add_f64 v[132:133], v[132:133], v[144:145]
	v_fma_f64 v[144:145], s[20:21], v[76:77], v[142:143]
	v_fma_f64 v[136:137], v[88:89], s[14:15], -v[136:137]
	v_fmac_f64_e32 v[142:143], s[42:43], v[76:77]
	v_mul_f64 v[78:79], v[78:79], s[34:35]
	v_fma_f64 v[146:147], s[12:13], v[76:77], v[90:91]
	v_fmac_f64_e32 v[90:91], s[34:35], v[76:77]
	v_add_f64 v[136:137], v[136:137], v[140:141]
	v_add_f64 v[140:141], v[142:143], v[152:153]
	v_fma_f64 v[142:143], s[0:1], v[88:89], v[78:79]
	v_fma_f64 v[78:79], v[88:89], s[0:1], -v[78:79]
	v_add_f64 v[76:77], v[90:91], v[82:83]
	v_add_f64 v[82:83], v[70:71], v[74:75]
	v_add_f64 v[70:71], v[70:71], -v[74:75]
	v_add_f64 v[78:79], v[78:79], v[80:81]
	v_add_f64 v[80:81], v[68:69], v[72:73]
	v_add_f64 v[68:69], v[68:69], -v[72:73]
	v_mul_f64 v[72:73], v[70:71], s[20:21]
	v_fma_f64 v[74:75], s[14:15], v[80:81], v[72:73]
	v_add_f64 v[74:75], v[74:75], v[86:87]
	v_mul_f64 v[86:87], v[82:83], s[14:15]
	v_fma_f64 v[88:89], s[42:43], v[68:69], v[86:87]
	v_fma_f64 v[72:73], v[80:81], s[14:15], -v[72:73]
	v_fmac_f64_e32 v[86:87], s[20:21], v[68:69]
	v_add_f64 v[72:73], v[72:73], v[84:85]
	v_add_f64 v[84:85], v[86:87], v[92:93]
	v_mul_f64 v[86:87], v[70:71], s[36:37]
	v_fma_f64 v[90:91], s[26:27], v[80:81], v[86:87]
	v_fma_f64 v[86:87], v[80:81], s[26:27], -v[86:87]
	v_mul_f64 v[92:93], v[82:83], s[26:27]
	v_add_f64 v[86:87], v[86:87], v[94:95]
	v_mul_f64 v[94:95], v[70:71], s[52:53]
	v_add_f64 v[88:89], v[88:89], v[96:97]
	v_add_f64 v[90:91], v[90:91], v[98:99]
	v_fma_f64 v[96:97], s[54:55], v[68:69], v[92:93]
	v_fmac_f64_e32 v[92:93], s[36:37], v[68:69]
	v_fma_f64 v[98:99], s[38:39], v[80:81], v[94:95]
	v_fma_f64 v[94:95], v[80:81], s[38:39], -v[94:95]
	v_add_f64 v[92:93], v[92:93], v[100:101]
	v_mul_f64 v[100:101], v[82:83], s[38:39]
	v_add_f64 v[94:95], v[94:95], v[104:105]
	v_mul_f64 v[104:105], v[70:71], s[46:47]
	v_add_f64 v[96:97], v[96:97], v[102:103]
	v_add_f64 v[98:99], v[98:99], v[106:107]
	v_fma_f64 v[102:103], s[44:45], v[68:69], v[100:101]
	v_fmac_f64_e32 v[100:101], s[52:53], v[68:69]
	v_fma_f64 v[106:107], s[22:23], v[80:81], v[104:105]
	v_fma_f64 v[104:105], v[80:81], s[22:23], -v[104:105]
	v_add_f64 v[100:101], v[100:101], v[108:109]
	;; [unrolled: 10-line block ×4, first 2 shown]
	v_mul_f64 v[124:125], v[82:83], s[0:1]
	v_add_f64 v[120:121], v[120:121], v[128:129]
	v_mul_f64 v[128:129], v[70:71], s[24:25]
	v_add_f64 v[118:119], v[118:119], v[126:127]
	v_add_f64 v[122:123], v[122:123], v[130:131]
	v_fma_f64 v[126:127], s[34:35], v[68:69], v[124:125]
	v_fmac_f64_e32 v[124:125], s[12:13], v[68:69]
	v_fma_f64 v[130:131], s[18:19], v[80:81], v[128:129]
	v_fma_f64 v[128:129], v[80:81], s[18:19], -v[128:129]
	v_mul_f64 v[70:71], v[70:71], s[40:41]
	v_add_f64 v[124:125], v[124:125], v[132:133]
	v_mul_f64 v[132:133], v[82:83], s[18:19]
	v_add_f64 v[128:129], v[128:129], v[136:137]
	v_fma_f64 v[136:137], s[30:31], v[80:81], v[70:71]
	v_mul_f64 v[82:83], v[82:83], s[30:31]
	v_fma_f64 v[70:71], v[80:81], s[30:31], -v[70:71]
	v_add_f64 v[130:131], v[130:131], v[138:139]
	v_fma_f64 v[138:139], s[50:51], v[68:69], v[82:83]
	v_add_f64 v[70:71], v[70:71], v[78:79]
	v_fmac_f64_e32 v[82:83], s[40:41], v[68:69]
	v_add_f64 v[78:79], v[62:63], v[66:67]
	v_add_f64 v[62:63], v[62:63], -v[66:67]
	v_add_f64 v[126:127], v[126:127], v[134:135]
	v_fma_f64 v[134:135], s[56:57], v[68:69], v[132:133]
	v_fmac_f64_e32 v[132:133], s[24:25], v[68:69]
	v_add_f64 v[68:69], v[82:83], v[76:77]
	v_add_f64 v[76:77], v[60:61], v[64:65]
	v_add_f64 v[60:61], v[60:61], -v[64:65]
	v_mul_f64 v[64:65], v[62:63], s[24:25]
	v_fma_f64 v[66:67], s[18:19], v[76:77], v[64:65]
	v_add_f64 v[66:67], v[66:67], v[74:75]
	v_mul_f64 v[74:75], v[78:79], s[18:19]
	v_fma_f64 v[80:81], s[56:57], v[60:61], v[74:75]
	v_fma_f64 v[64:65], v[76:77], s[18:19], -v[64:65]
	v_fmac_f64_e32 v[74:75], s[24:25], v[60:61]
	v_add_f64 v[64:65], v[64:65], v[72:73]
	v_add_f64 v[72:73], v[74:75], v[84:85]
	v_mul_f64 v[74:75], v[62:63], s[44:45]
	v_fma_f64 v[82:83], s[38:39], v[76:77], v[74:75]
	v_fma_f64 v[74:75], v[76:77], s[38:39], -v[74:75]
	v_mul_f64 v[84:85], v[78:79], s[38:39]
	v_add_f64 v[74:75], v[74:75], v[86:87]
	v_mul_f64 v[86:87], v[62:63], s[46:47]
	v_add_f64 v[80:81], v[80:81], v[88:89]
	v_add_f64 v[82:83], v[82:83], v[90:91]
	v_fma_f64 v[88:89], s[52:53], v[60:61], v[84:85]
	v_fmac_f64_e32 v[84:85], s[44:45], v[60:61]
	v_fma_f64 v[90:91], s[22:23], v[76:77], v[86:87]
	v_fma_f64 v[86:87], v[76:77], s[22:23], -v[86:87]
	v_add_f64 v[84:85], v[84:85], v[92:93]
	v_mul_f64 v[92:93], v[78:79], s[22:23]
	v_add_f64 v[86:87], v[86:87], v[94:95]
	v_mul_f64 v[94:95], v[62:63], s[34:35]
	v_add_f64 v[88:89], v[88:89], v[96:97]
	v_add_f64 v[90:91], v[90:91], v[98:99]
	v_fma_f64 v[96:97], s[28:29], v[60:61], v[92:93]
	v_fmac_f64_e32 v[92:93], s[46:47], v[60:61]
	v_fma_f64 v[98:99], s[0:1], v[76:77], v[94:95]
	v_fma_f64 v[94:95], v[76:77], s[0:1], -v[94:95]
	v_add_f64 v[92:93], v[92:93], v[100:101]
	;; [unrolled: 10-line block ×4, first 2 shown]
	v_mul_f64 v[116:117], v[78:79], s[30:31]
	v_add_f64 v[112:113], v[112:113], v[120:121]
	v_mul_f64 v[120:121], v[62:63], s[54:55]
	v_add_f64 v[110:111], v[110:111], v[118:119]
	v_add_f64 v[114:115], v[114:115], v[122:123]
	v_fma_f64 v[118:119], s[50:51], v[60:61], v[116:117]
	v_fmac_f64_e32 v[116:117], s[40:41], v[60:61]
	v_fma_f64 v[122:123], s[26:27], v[76:77], v[120:121]
	v_fma_f64 v[120:121], v[76:77], s[26:27], -v[120:121]
	v_mul_f64 v[62:63], v[62:63], s[48:49]
	v_add_f64 v[116:117], v[116:117], v[124:125]
	v_mul_f64 v[124:125], v[78:79], s[26:27]
	v_add_f64 v[120:121], v[120:121], v[128:129]
	v_fma_f64 v[128:129], s[8:9], v[76:77], v[62:63]
	v_mul_f64 v[78:79], v[78:79], s[8:9]
	v_fma_f64 v[62:63], v[76:77], s[8:9], -v[62:63]
	v_add_f64 v[122:123], v[122:123], v[130:131]
	v_fma_f64 v[130:131], s[16:17], v[60:61], v[78:79]
	v_add_f64 v[62:63], v[62:63], v[70:71]
	v_fmac_f64_e32 v[78:79], s[48:49], v[60:61]
	v_add_f64 v[70:71], v[50:51], v[54:55]
	v_add_f64 v[50:51], v[50:51], -v[54:55]
	v_add_f64 v[118:119], v[118:119], v[126:127]
	v_fma_f64 v[126:127], s[36:37], v[60:61], v[124:125]
	v_fmac_f64_e32 v[124:125], s[54:55], v[60:61]
	v_add_f64 v[60:61], v[78:79], v[68:69]
	v_add_f64 v[68:69], v[48:49], v[52:53]
	v_add_f64 v[48:49], v[48:49], -v[52:53]
	v_mul_f64 v[52:53], v[50:51], s[28:29]
	v_fma_f64 v[54:55], s[22:23], v[68:69], v[52:53]
	v_add_f64 v[54:55], v[54:55], v[66:67]
	v_mul_f64 v[66:67], v[70:71], s[22:23]
	v_fma_f64 v[76:77], s[46:47], v[48:49], v[66:67]
	v_fma_f64 v[52:53], v[68:69], s[22:23], -v[52:53]
	v_fmac_f64_e32 v[66:67], s[28:29], v[48:49]
	v_add_f64 v[52:53], v[52:53], v[64:65]
	v_add_f64 v[64:65], v[66:67], v[72:73]
	v_mul_f64 v[66:67], v[50:51], s[50:51]
	v_mul_f64 v[78:79], v[70:71], s[30:31]
	v_add_f64 v[76:77], v[76:77], v[80:81]
	v_fma_f64 v[72:73], s[30:31], v[68:69], v[66:67]
	v_fma_f64 v[80:81], s[40:41], v[48:49], v[78:79]
	v_fma_f64 v[66:67], v[68:69], s[30:31], -v[66:67]
	v_fmac_f64_e32 v[78:79], s[50:51], v[48:49]
	v_add_f64 v[66:67], v[66:67], v[74:75]
	v_add_f64 v[74:75], v[78:79], v[84:85]
	v_mul_f64 v[78:79], v[50:51], s[48:49]
	v_add_f64 v[72:73], v[72:73], v[82:83]
	v_fma_f64 v[82:83], s[8:9], v[68:69], v[78:79]
	v_fma_f64 v[78:79], v[68:69], s[8:9], -v[78:79]
	v_mul_f64 v[84:85], v[70:71], s[8:9]
	v_add_f64 v[78:79], v[78:79], v[86:87]
	v_mul_f64 v[86:87], v[50:51], s[20:21]
	v_add_f64 v[80:81], v[80:81], v[88:89]
	v_add_f64 v[82:83], v[82:83], v[90:91]
	v_fma_f64 v[88:89], s[16:17], v[48:49], v[84:85]
	v_fmac_f64_e32 v[84:85], s[48:49], v[48:49]
	v_fma_f64 v[90:91], s[14:15], v[68:69], v[86:87]
	v_fma_f64 v[86:87], v[68:69], s[14:15], -v[86:87]
	v_add_f64 v[84:85], v[84:85], v[92:93]
	v_mul_f64 v[92:93], v[70:71], s[14:15]
	v_add_f64 v[86:87], v[86:87], v[94:95]
	v_mul_f64 v[94:95], v[50:51], s[44:45]
	v_add_f64 v[88:89], v[88:89], v[96:97]
	v_add_f64 v[90:91], v[90:91], v[98:99]
	v_fma_f64 v[96:97], s[42:43], v[48:49], v[92:93]
	v_fmac_f64_e32 v[92:93], s[20:21], v[48:49]
	v_fma_f64 v[98:99], s[38:39], v[68:69], v[94:95]
	v_fma_f64 v[94:95], v[68:69], s[38:39], -v[94:95]
	v_add_f64 v[92:93], v[92:93], v[100:101]
	v_mul_f64 v[100:101], v[70:71], s[38:39]
	v_add_f64 v[94:95], v[94:95], v[104:105]
	v_mul_f64 v[104:105], v[50:51], s[56:57]
	v_add_f64 v[96:97], v[96:97], v[102:103]
	v_add_f64 v[98:99], v[98:99], v[106:107]
	v_fma_f64 v[102:103], s[52:53], v[48:49], v[100:101]
	v_fmac_f64_e32 v[100:101], s[44:45], v[48:49]
	v_fma_f64 v[106:107], s[18:19], v[68:69], v[104:105]
	v_fma_f64 v[104:105], v[68:69], s[18:19], -v[104:105]
	v_add_f64 v[100:101], v[100:101], v[108:109]
	v_mul_f64 v[108:109], v[70:71], s[18:19]
	v_add_f64 v[104:105], v[104:105], v[112:113]
	v_mul_f64 v[112:113], v[50:51], s[12:13]
	v_add_f64 v[102:103], v[102:103], v[110:111]
	v_add_f64 v[106:107], v[106:107], v[114:115]
	v_fma_f64 v[110:111], s[24:25], v[48:49], v[108:109]
	v_fmac_f64_e32 v[108:109], s[56:57], v[48:49]
	v_fma_f64 v[114:115], s[0:1], v[68:69], v[112:113]
	v_fma_f64 v[112:113], v[68:69], s[0:1], -v[112:113]
	v_mul_f64 v[50:51], v[50:51], s[36:37]
	v_add_f64 v[108:109], v[108:109], v[116:117]
	v_mul_f64 v[116:117], v[70:71], s[0:1]
	v_add_f64 v[112:113], v[112:113], v[120:121]
	v_fma_f64 v[120:121], s[26:27], v[68:69], v[50:51]
	v_mul_f64 v[70:71], v[70:71], s[26:27]
	v_fma_f64 v[50:51], v[68:69], s[26:27], -v[50:51]
	v_add_f64 v[114:115], v[114:115], v[122:123]
	v_fma_f64 v[122:123], s[54:55], v[48:49], v[70:71]
	v_add_f64 v[50:51], v[50:51], v[62:63]
	v_fmac_f64_e32 v[70:71], s[36:37], v[48:49]
	v_add_f64 v[62:63], v[42:43], v[46:47]
	v_add_f64 v[42:43], v[42:43], -v[46:47]
	v_add_f64 v[110:111], v[110:111], v[118:119]
	v_fma_f64 v[118:119], s[34:35], v[48:49], v[116:117]
	v_fmac_f64_e32 v[116:117], s[12:13], v[48:49]
	v_add_f64 v[48:49], v[70:71], v[60:61]
	v_add_f64 v[60:61], v[40:41], v[44:45]
	v_add_f64 v[40:41], v[40:41], -v[44:45]
	v_mul_f64 v[44:45], v[42:43], s[36:37]
	v_fma_f64 v[46:47], s[26:27], v[60:61], v[44:45]
	v_add_f64 v[46:47], v[46:47], v[54:55]
	v_mul_f64 v[54:55], v[62:63], s[26:27]
	v_fma_f64 v[68:69], s[54:55], v[40:41], v[54:55]
	v_fma_f64 v[44:45], v[60:61], s[26:27], -v[44:45]
	v_fmac_f64_e32 v[54:55], s[36:37], v[40:41]
	v_add_f64 v[44:45], v[44:45], v[52:53]
	v_add_f64 v[52:53], v[54:55], v[64:65]
	v_mul_f64 v[54:55], v[42:43], s[46:47]
	v_fma_f64 v[64:65], s[22:23], v[60:61], v[54:55]
	v_mul_f64 v[70:71], v[62:63], s[22:23]
	v_add_f64 v[64:65], v[64:65], v[72:73]
	v_fma_f64 v[72:73], s[28:29], v[40:41], v[70:71]
	v_fma_f64 v[54:55], v[60:61], s[22:23], -v[54:55]
	v_fmac_f64_e32 v[70:71], s[46:47], v[40:41]
	v_add_f64 v[54:55], v[54:55], v[66:67]
	v_add_f64 v[66:67], v[70:71], v[74:75]
	v_mul_f64 v[70:71], v[42:43], s[12:13]
	v_fma_f64 v[74:75], s[0:1], v[60:61], v[70:71]
	v_fma_f64 v[70:71], v[60:61], s[0:1], -v[70:71]
	v_add_f64 v[68:69], v[68:69], v[76:77]
	v_mul_f64 v[76:77], v[62:63], s[0:1]
	v_add_f64 v[70:71], v[70:71], v[78:79]
	v_mul_f64 v[78:79], v[42:43], s[40:41]
	v_add_f64 v[72:73], v[72:73], v[80:81]
	v_add_f64 v[74:75], v[74:75], v[82:83]
	v_fma_f64 v[80:81], s[34:35], v[40:41], v[76:77]
	v_fmac_f64_e32 v[76:77], s[12:13], v[40:41]
	v_fma_f64 v[82:83], s[30:31], v[60:61], v[78:79]
	v_fma_f64 v[78:79], v[60:61], s[30:31], -v[78:79]
	v_add_f64 v[76:77], v[76:77], v[84:85]
	v_mul_f64 v[84:85], v[62:63], s[30:31]
	v_add_f64 v[78:79], v[78:79], v[86:87]
	v_mul_f64 v[86:87], v[42:43], s[56:57]
	v_add_f64 v[80:81], v[80:81], v[88:89]
	v_add_f64 v[82:83], v[82:83], v[90:91]
	v_fma_f64 v[88:89], s[50:51], v[40:41], v[84:85]
	v_fmac_f64_e32 v[84:85], s[40:41], v[40:41]
	;; [unrolled: 10-line block ×4, first 2 shown]
	v_fma_f64 v[106:107], s[38:39], v[60:61], v[104:105]
	v_fma_f64 v[104:105], v[60:61], s[38:39], -v[104:105]
	v_mul_f64 v[42:43], v[42:43], s[42:43]
	v_add_f64 v[100:101], v[100:101], v[108:109]
	v_mul_f64 v[108:109], v[62:63], s[38:39]
	v_add_f64 v[104:105], v[104:105], v[112:113]
	v_fma_f64 v[112:113], s[14:15], v[60:61], v[42:43]
	v_mul_f64 v[62:63], v[62:63], s[14:15]
	v_fma_f64 v[42:43], v[60:61], s[14:15], -v[42:43]
	v_add_f64 v[106:107], v[106:107], v[114:115]
	v_fma_f64 v[114:115], s[20:21], v[40:41], v[62:63]
	v_add_f64 v[42:43], v[42:43], v[50:51]
	v_fmac_f64_e32 v[62:63], s[42:43], v[40:41]
	v_add_f64 v[50:51], v[34:35], v[38:39]
	v_add_f64 v[34:35], v[34:35], -v[38:39]
	v_add_f64 v[102:103], v[102:103], v[110:111]
	v_fma_f64 v[110:111], s[52:53], v[40:41], v[108:109]
	v_fmac_f64_e32 v[108:109], s[44:45], v[40:41]
	v_add_f64 v[40:41], v[62:63], v[48:49]
	v_add_f64 v[48:49], v[32:33], v[36:37]
	v_add_f64 v[32:33], v[32:33], -v[36:37]
	v_mul_f64 v[36:37], v[34:35], s[40:41]
	v_fma_f64 v[38:39], s[30:31], v[48:49], v[36:37]
	v_add_f64 v[38:39], v[38:39], v[46:47]
	v_mul_f64 v[46:47], v[50:51], s[30:31]
	v_fma_f64 v[60:61], s[50:51], v[32:33], v[46:47]
	v_fma_f64 v[36:37], v[48:49], s[30:31], -v[36:37]
	v_fmac_f64_e32 v[46:47], s[40:41], v[32:33]
	v_add_f64 v[36:37], v[36:37], v[44:45]
	v_add_f64 v[44:45], v[46:47], v[52:53]
	v_mul_f64 v[46:47], v[34:35], s[42:43]
	v_fma_f64 v[52:53], s[14:15], v[48:49], v[46:47]
	v_mul_f64 v[62:63], v[50:51], s[14:15]
	v_add_f64 v[52:53], v[52:53], v[64:65]
	v_fma_f64 v[64:65], s[20:21], v[32:33], v[62:63]
	v_fma_f64 v[46:47], v[48:49], s[14:15], -v[46:47]
	v_fmac_f64_e32 v[62:63], s[42:43], v[32:33]
	v_add_f64 v[46:47], v[46:47], v[54:55]
	v_add_f64 v[54:55], v[62:63], v[66:67]
	v_mul_f64 v[62:63], v[34:35], s[24:25]
	v_fma_f64 v[66:67], s[18:19], v[48:49], v[62:63]
	v_fma_f64 v[62:63], v[48:49], s[18:19], -v[62:63]
	v_add_f64 v[60:61], v[60:61], v[68:69]
	v_mul_f64 v[68:69], v[50:51], s[18:19]
	v_add_f64 v[62:63], v[62:63], v[70:71]
	v_mul_f64 v[70:71], v[34:35], s[54:55]
	v_add_f64 v[64:65], v[64:65], v[72:73]
	v_add_f64 v[66:67], v[66:67], v[74:75]
	v_fma_f64 v[72:73], s[56:57], v[32:33], v[68:69]
	v_fmac_f64_e32 v[68:69], s[24:25], v[32:33]
	v_fma_f64 v[74:75], s[26:27], v[48:49], v[70:71]
	v_fma_f64 v[70:71], v[48:49], s[26:27], -v[70:71]
	v_add_f64 v[68:69], v[68:69], v[76:77]
	v_mul_f64 v[76:77], v[50:51], s[26:27]
	v_add_f64 v[70:71], v[70:71], v[78:79]
	v_mul_f64 v[78:79], v[34:35], s[12:13]
	v_add_f64 v[72:73], v[72:73], v[80:81]
	v_add_f64 v[74:75], v[74:75], v[82:83]
	v_fma_f64 v[80:81], s[36:37], v[32:33], v[76:77]
	v_fmac_f64_e32 v[76:77], s[54:55], v[32:33]
	v_fma_f64 v[82:83], s[0:1], v[48:49], v[78:79]
	v_fma_f64 v[78:79], v[48:49], s[0:1], -v[78:79]
	v_add_f64 v[144:145], v[144:145], v[154:155]
	v_add_f64 v[142:143], v[142:143], v[156:157]
	;; [unrolled: 1-line block ×3, first 2 shown]
	v_mul_f64 v[84:85], v[50:51], s[0:1]
	v_add_f64 v[78:79], v[78:79], v[86:87]
	v_mul_f64 v[86:87], v[34:35], s[44:45]
	v_add_f64 v[146:147], v[146:147], v[158:159]
	v_add_f64 v[134:135], v[134:135], v[144:145]
	v_add_f64 v[136:137], v[136:137], v[142:143]
	v_add_f64 v[80:81], v[80:81], v[88:89]
	v_add_f64 v[82:83], v[82:83], v[90:91]
	v_fma_f64 v[88:89], s[34:35], v[32:33], v[84:85]
	v_fmac_f64_e32 v[84:85], s[12:13], v[32:33]
	v_fma_f64 v[90:91], s[38:39], v[48:49], v[86:87]
	v_fma_f64 v[86:87], v[48:49], s[38:39], -v[86:87]
	v_add_f64 v[132:133], v[132:133], v[140:141]
	v_add_f64 v[138:139], v[138:139], v[146:147]
	v_add_f64 v[126:127], v[126:127], v[134:135]
	v_add_f64 v[128:129], v[128:129], v[136:137]
	v_add_f64 v[84:85], v[84:85], v[92:93]
	v_mul_f64 v[92:93], v[50:51], s[38:39]
	v_add_f64 v[86:87], v[86:87], v[94:95]
	v_mul_f64 v[94:95], v[34:35], s[48:49]
	v_add_f64 v[124:125], v[124:125], v[132:133]
	v_add_f64 v[130:131], v[130:131], v[138:139]
	;; [unrolled: 1-line block ×6, first 2 shown]
	v_fma_f64 v[96:97], s[52:53], v[32:33], v[92:93]
	v_fmac_f64_e32 v[92:93], s[44:45], v[32:33]
	v_fma_f64 v[98:99], s[8:9], v[48:49], v[94:95]
	v_fma_f64 v[94:95], v[48:49], s[8:9], -v[94:95]
	v_mul_f64 v[34:35], v[34:35], s[28:29]
	v_add_f64 v[116:117], v[116:117], v[124:125]
	v_add_f64 v[122:123], v[122:123], v[130:131]
	v_add_f64 v[110:111], v[110:111], v[118:119]
	v_add_f64 v[112:113], v[112:113], v[120:121]
	v_add_f64 v[92:93], v[92:93], v[100:101]
	v_mul_f64 v[100:101], v[50:51], s[8:9]
	v_add_f64 v[94:95], v[94:95], v[104:105]
	v_fma_f64 v[104:105], s[22:23], v[48:49], v[34:35]
	v_mul_f64 v[50:51], v[50:51], s[22:23]
	v_add_f64 v[118:119], v[26:27], -v[30:31]
	v_add_f64 v[108:109], v[108:109], v[116:117]
	v_add_f64 v[114:115], v[114:115], v[122:123]
	;; [unrolled: 1-line block ×4, first 2 shown]
	v_fma_f64 v[106:107], s[46:47], v[32:33], v[50:51]
	v_add_f64 v[112:113], v[24:25], v[28:29]
	v_add_f64 v[116:117], v[24:25], -v[28:29]
	v_mul_f64 v[28:29], v[118:119], s[44:45]
	v_add_f64 v[106:107], v[106:107], v[114:115]
	v_add_f64 v[114:115], v[26:27], v[30:31]
	v_fma_f64 v[24:25], s[38:39], v[112:113], v[28:29]
	v_fma_f64 v[28:29], v[112:113], s[38:39], -v[28:29]
	v_mul_f64 v[30:31], v[114:115], s[38:39]
	v_add_f64 v[28:29], v[28:29], v[36:37]
	v_mul_f64 v[36:37], v[118:119], s[34:35]
	v_add_f64 v[96:97], v[96:97], v[102:103]
	v_fma_f64 v[102:103], s[16:17], v[32:33], v[100:101]
	v_fmac_f64_e32 v[100:101], s[48:49], v[32:33]
	v_fmac_f64_e32 v[50:51], s[28:29], v[32:33]
	v_fma_f64 v[26:27], s[52:53], v[116:117], v[30:31]
	v_fmac_f64_e32 v[30:31], s[44:45], v[116:117]
	v_fma_f64 v[32:33], s[0:1], v[112:113], v[36:37]
	v_fma_f64 v[36:37], v[112:113], s[0:1], -v[36:37]
	v_fma_f64 v[34:35], v[48:49], s[22:23], -v[34:35]
	v_add_f64 v[24:25], v[24:25], v[38:39]
	v_add_f64 v[30:31], v[30:31], v[44:45]
	v_mul_f64 v[38:39], v[114:115], s[0:1]
	v_add_f64 v[36:37], v[36:37], v[46:47]
	v_mul_f64 v[44:45], v[118:119], s[40:41]
	v_mul_f64 v[46:47], v[114:115], s[30:31]
	v_add_f64 v[102:103], v[102:103], v[110:111]
	v_add_f64 v[100:101], v[100:101], v[108:109]
	;; [unrolled: 1-line block ×4, first 2 shown]
	v_fma_f64 v[34:35], s[12:13], v[116:117], v[38:39]
	v_fmac_f64_e32 v[38:39], s[34:35], v[116:117]
	v_fma_f64 v[40:41], s[30:31], v[112:113], v[44:45]
	v_fma_f64 v[42:43], s[50:51], v[116:117], v[46:47]
	v_add_f64 v[32:33], v[32:33], v[52:53]
	v_add_f64 v[34:35], v[34:35], v[64:65]
	v_add_f64 v[38:39], v[38:39], v[54:55]
	v_add_f64 v[40:41], v[40:41], v[66:67]
	v_add_f64 v[42:43], v[42:43], v[72:73]
	v_fma_f64 v[44:45], v[112:113], s[30:31], -v[44:45]
	v_fmac_f64_e32 v[46:47], s[40:41], v[116:117]
	v_mul_f64 v[52:53], v[118:119], s[48:49]
	v_mul_f64 v[54:55], v[114:115], s[8:9]
	v_mul_f64 v[64:65], v[118:119], s[36:37]
	v_mul_f64 v[66:67], v[114:115], s[26:27]
	v_mul_f64 v[72:73], v[118:119], s[42:43]
	v_add_f64 v[26:27], v[26:27], v[60:61]
	v_add_f64 v[44:45], v[44:45], v[62:63]
	;; [unrolled: 1-line block ×3, first 2 shown]
	v_fma_f64 v[48:49], s[8:9], v[112:113], v[52:53]
	v_fma_f64 v[50:51], s[16:17], v[116:117], v[54:55]
	;; [unrolled: 1-line block ×5, first 2 shown]
	v_add_f64 v[48:49], v[48:49], v[74:75]
	v_add_f64 v[50:51], v[50:51], v[80:81]
	v_fma_f64 v[52:53], v[112:113], s[8:9], -v[52:53]
	v_fmac_f64_e32 v[54:55], s[48:49], v[116:117]
	v_add_f64 v[60:61], v[60:61], v[82:83]
	v_add_f64 v[62:63], v[62:63], v[88:89]
	v_fma_f64 v[64:65], v[112:113], s[26:27], -v[64:65]
	v_fmac_f64_e32 v[66:67], s[36:37], v[116:117]
	v_add_f64 v[68:69], v[68:69], v[90:91]
	v_mul_f64 v[74:75], v[114:115], s[14:15]
	v_fma_f64 v[72:73], v[112:113], s[14:15], -v[72:73]
	v_mul_f64 v[80:81], v[118:119], s[28:29]
	v_mul_f64 v[82:83], v[114:115], s[22:23]
	;; [unrolled: 1-line block ×4, first 2 shown]
	v_add_u32_e32 v235, 0x220, v148
	v_add_u32_e32 v221, 0x330, v148
	;; [unrolled: 1-line block ×3, first 2 shown]
	v_add_f64 v[52:53], v[52:53], v[70:71]
	v_add_f64 v[54:55], v[54:55], v[76:77]
	v_add_f64 v[64:65], v[64:65], v[78:79]
	v_add_f64 v[66:67], v[66:67], v[84:85]
	v_fma_f64 v[70:71], s[20:21], v[116:117], v[74:75]
	v_add_f64 v[72:73], v[72:73], v[86:87]
	v_fmac_f64_e32 v[74:75], s[42:43], v[116:117]
	v_fma_f64 v[76:77], s[22:23], v[112:113], v[80:81]
	v_fma_f64 v[78:79], s[46:47], v[116:117], v[82:83]
	v_fma_f64 v[80:81], v[112:113], s[22:23], -v[80:81]
	v_fmac_f64_e32 v[82:83], s[28:29], v[116:117]
	v_fma_f64 v[84:85], s[18:19], v[112:113], v[88:89]
	v_fma_f64 v[86:87], s[24:25], v[116:117], v[90:91]
	v_fma_f64 v[88:89], v[112:113], s[18:19], -v[88:89]
	v_fmac_f64_e32 v[90:91], s[56:57], v[116:117]
	v_add_f64 v[70:71], v[70:71], v[96:97]
	v_add_f64 v[74:75], v[74:75], v[92:93]
	;; [unrolled: 1-line block ×10, first 2 shown]
	s_waitcnt lgkmcnt(0)
	; wave barrier
	ds_write_b128 v149, v[56:59]
	ds_write_b128 v149, v[24:27] offset:16
	ds_write_b128 v149, v[32:35] offset:32
	;; [unrolled: 1-line block ×16, first 2 shown]
	s_and_saveexec_b64 s[58:59], vcc
	s_cbranch_execz .LBB0_13
; %bb.12:
	v_accvgpr_write_b32 a114, v226
	v_accvgpr_write_b32 a118, v230
	;; [unrolled: 1-line block ×6, first 2 shown]
	v_mov_b64_e32 v[228:229], v[224:225]
	v_accvgpr_write_b32 a119, v231
	v_accvgpr_write_b32 a120, v232
	;; [unrolled: 1-line block ×3, first 2 shown]
	v_accvgpr_read_b32 v233, a99
	v_accvgpr_write_b32 a123, v237
	v_accvgpr_write_b32 a124, v238
	;; [unrolled: 1-line block ×3, first 2 shown]
	v_accvgpr_read_b32 v239, a103
	v_add_f64 v[110:111], v[20:21], -v[222:223]
	v_add_f64 v[78:79], v[22:23], v[224:225]
	v_mov_b64_e32 v[226:227], v[222:223]
	v_accvgpr_read_b32 v225, a95
	v_accvgpr_read_b32 v232, a98
	;; [unrolled: 1-line block ×10, first 2 shown]
	v_accvgpr_write_b32 a98, v204
	v_accvgpr_write_b32 a94, v200
	;; [unrolled: 1-line block ×9, first 2 shown]
	v_accvgpr_read_b32 v205, a75
	v_accvgpr_write_b32 a106, v212
	v_accvgpr_write_b32 a103, v209
	;; [unrolled: 1-line block ×4, first 2 shown]
	v_accvgpr_read_b32 v209, a79
	v_accvgpr_read_b32 v203, a73
	;; [unrolled: 1-line block ×3, first 2 shown]
	v_accvgpr_write_b32 a110, v216
	v_accvgpr_write_b32 a107, v213
	;; [unrolled: 1-line block ×4, first 2 shown]
	v_accvgpr_read_b32 v213, a83
	v_accvgpr_read_b32 v207, a77
	;; [unrolled: 1-line block ×4, first 2 shown]
	v_add_f64 v[122:123], v[252:253], -v[202:203]
	v_accvgpr_write_b32 a111, v217
	v_accvgpr_write_b32 a112, v218
	;; [unrolled: 1-line block ×3, first 2 shown]
	v_accvgpr_read_b32 v217, a87
	v_accvgpr_read_b32 v211, a81
	;; [unrolled: 1-line block ×4, first 2 shown]
	v_add_f64 v[120:121], v[4:5], -v[206:207]
	v_mul_f64 v[52:53], v[122:123], s[44:45]
	v_add_f64 v[90:91], v[254:255], v[204:205]
	v_add_f64 v[138:139], v[254:255], -v[204:205]
	v_accvgpr_write_b32 a194, v220
	v_accvgpr_write_b32 a195, v221
	v_accvgpr_read_b32 v221, a91
	v_accvgpr_read_b32 v215, a85
	;; [unrolled: 1-line block ×4, first 2 shown]
	v_add_f64 v[118:119], v[12:13], -v[210:211]
	v_mul_f64 v[48:49], v[120:121], s[34:35]
	v_add_f64 v[88:89], v[6:7], v[208:209]
	v_fma_f64 v[54:55], s[38:39], v[90:91], v[52:53]
	v_add_f64 v[136:137], v[6:7], -v[208:209]
	v_add_f64 v[106:107], v[252:253], v[202:203]
	v_mul_f64 v[70:71], v[138:139], s[44:45]
	v_accvgpr_read_b32 v219, a89
	v_accvgpr_read_b32 v218, a88
	;; [unrolled: 1-line block ×3, first 2 shown]
	v_add_f64 v[116:117], v[8:9], -v[214:215]
	v_mul_f64 v[44:45], v[118:119], s[40:41]
	v_add_f64 v[86:87], v[14:15], v[212:213]
	v_fma_f64 v[50:51], s[0:1], v[88:89], v[48:49]
	v_add_f64 v[54:55], v[2:3], v[54:55]
	v_add_f64 v[134:135], v[14:15], -v[212:213]
	v_add_f64 v[104:105], v[4:5], v[206:207]
	v_mul_f64 v[66:67], v[136:137], s[34:35]
	v_fma_f64 v[72:73], v[106:107], s[38:39], -v[70:71]
	v_accvgpr_read_b32 v220, a90
	v_add_f64 v[114:115], v[16:17], -v[218:219]
	v_mul_f64 v[40:41], v[116:117], s[48:49]
	v_add_f64 v[84:85], v[10:11], v[216:217]
	v_fma_f64 v[46:47], s[30:31], v[86:87], v[44:45]
	v_add_f64 v[50:51], v[50:51], v[54:55]
	v_add_f64 v[132:133], v[10:11], -v[216:217]
	v_add_f64 v[96:97], v[12:13], v[210:211]
	v_mul_f64 v[62:63], v[134:135], s[40:41]
	v_fma_f64 v[68:69], v[104:105], s[0:1], -v[66:67]
	v_add_f64 v[72:73], v[0:1], v[72:73]
	v_add_f64 v[112:113], v[248:249], -v[222:223]
	v_mul_f64 v[36:37], v[114:115], s[36:37]
	v_add_f64 v[82:83], v[18:19], v[220:221]
	v_fma_f64 v[42:43], s[8:9], v[84:85], v[40:41]
	v_add_f64 v[46:47], v[46:47], v[50:51]
	v_add_f64 v[130:131], v[18:19], -v[220:221]
	v_add_f64 v[102:103], v[8:9], v[214:215]
	v_mul_f64 v[58:59], v[132:133], s[48:49]
	v_fma_f64 v[64:65], v[96:97], s[30:31], -v[62:63]
	v_add_f64 v[68:69], v[68:69], v[72:73]
	v_mul_f64 v[32:33], v[112:113], s[42:43]
	v_add_f64 v[80:81], v[250:251], v[224:225]
	v_fma_f64 v[38:39], s[26:27], v[82:83], v[36:37]
	v_add_f64 v[42:43], v[42:43], v[46:47]
	v_add_f64 v[128:129], v[250:251], -v[224:225]
	v_add_f64 v[100:101], v[16:17], v[218:219]
	v_mul_f64 v[54:55], v[130:131], s[36:37]
	v_fma_f64 v[60:61], v[102:103], s[8:9], -v[58:59]
	v_add_f64 v[64:65], v[64:65], v[68:69]
	v_add_f64 v[108:109], v[230:231], -v[236:237]
	v_mul_f64 v[30:31], v[110:111], s[28:29]
	v_fma_f64 v[34:35], s[14:15], v[80:81], v[32:33]
	v_add_f64 v[38:39], v[38:39], v[42:43]
	v_add_f64 v[126:127], v[22:23], -v[228:229]
	v_add_f64 v[98:99], v[248:249], v[222:223]
	v_mul_f64 v[46:47], v[128:129], s[42:43]
	v_fma_f64 v[56:57], v[100:101], s[26:27], -v[54:55]
	v_add_f64 v[60:61], v[60:61], v[64:65]
	v_mul_f64 v[28:29], v[108:109], s[56:57]
	v_add_f64 v[76:77], v[232:233], v[238:239]
	v_fma_f64 v[26:27], s[22:23], v[78:79], v[30:31]
	v_add_f64 v[34:35], v[34:35], v[38:39]
	v_add_f64 v[124:125], v[232:233], -v[238:239]
	v_add_f64 v[94:95], v[20:21], v[226:227]
	v_mul_f64 v[38:39], v[126:127], s[28:29]
	v_fma_f64 v[50:51], v[98:99], s[14:15], -v[46:47]
	v_add_f64 v[56:57], v[56:57], v[60:61]
	v_fma_f64 v[24:25], s[18:19], v[76:77], v[28:29]
	v_add_f64 v[26:27], v[26:27], v[34:35]
	v_add_f64 v[92:93], v[230:231], v[236:237]
	v_mul_f64 v[34:35], v[124:125], s[56:57]
	v_fma_f64 v[42:43], v[94:95], s[22:23], -v[38:39]
	v_add_f64 v[50:51], v[50:51], v[56:57]
	v_add_f64 v[26:27], v[24:25], v[26:27]
	v_fma_f64 v[24:25], v[92:93], s[18:19], -v[34:35]
	v_add_f64 v[42:43], v[42:43], v[50:51]
	v_add_f64 v[24:25], v[24:25], v[42:43]
	v_fma_f64 v[42:43], v[86:87], s[30:31], -v[44:45]
	v_fma_f64 v[44:45], v[88:89], s[0:1], -v[48:49]
	;; [unrolled: 1-line block ×3, first 2 shown]
	v_add_f64 v[48:49], v[2:3], v[48:49]
	v_add_f64 v[44:45], v[44:45], v[48:49]
	v_fma_f64 v[40:41], v[84:85], s[8:9], -v[40:41]
	v_add_f64 v[42:43], v[42:43], v[44:45]
	v_fma_f64 v[36:37], v[82:83], s[26:27], -v[36:37]
	;; [unrolled: 2-line block ×5, first 2 shown]
	v_add_f64 v[30:31], v[30:31], v[32:33]
	v_fmac_f64_e32 v[70:71], s[38:39], v[106:107]
	v_add_f64 v[30:31], v[28:29], v[30:31]
	v_fmac_f64_e32 v[66:67], s[0:1], v[104:105]
	;; [unrolled: 2-line block ×3, first 2 shown]
	v_add_f64 v[28:29], v[66:67], v[28:29]
	v_mul_f64 v[60:61], v[122:123], s[40:41]
	v_fmac_f64_e32 v[58:59], s[8:9], v[102:103]
	v_add_f64 v[28:29], v[62:63], v[28:29]
	v_mul_f64 v[56:57], v[120:121], s[42:43]
	v_fma_f64 v[62:63], s[30:31], v[90:91], v[60:61]
	v_mul_f64 v[142:143], v[138:139], s[40:41]
	v_fmac_f64_e32 v[54:55], s[26:27], v[100:101]
	v_add_f64 v[28:29], v[58:59], v[28:29]
	v_mul_f64 v[52:53], v[118:119], s[24:25]
	v_fma_f64 v[58:59], s[14:15], v[88:89], v[56:57]
	v_add_f64 v[62:63], v[2:3], v[62:63]
	v_mul_f64 v[74:75], v[136:137], s[42:43]
	v_fma_f64 v[144:145], v[106:107], s[30:31], -v[142:143]
	v_add_f64 v[28:29], v[54:55], v[28:29]
	v_mul_f64 v[48:49], v[116:117], s[54:55]
	v_fma_f64 v[54:55], s[18:19], v[86:87], v[52:53]
	v_add_f64 v[58:59], v[58:59], v[62:63]
	v_mul_f64 v[70:71], v[134:135], s[24:25]
	v_fma_f64 v[140:141], v[104:105], s[14:15], -v[74:75]
	v_add_f64 v[144:145], v[0:1], v[144:145]
	v_fmac_f64_e32 v[46:47], s[14:15], v[98:99]
	v_mul_f64 v[44:45], v[114:115], s[12:13]
	v_fma_f64 v[50:51], s[26:27], v[84:85], v[48:49]
	v_add_f64 v[54:55], v[54:55], v[58:59]
	v_mul_f64 v[66:67], v[132:133], s[54:55]
	v_fma_f64 v[72:73], v[96:97], s[18:19], -v[70:71]
	v_add_f64 v[140:141], v[140:141], v[144:145]
	v_fmac_f64_e32 v[38:39], s[22:23], v[94:95]
	v_add_f64 v[28:29], v[46:47], v[28:29]
	v_mul_f64 v[40:41], v[112:113], s[44:45]
	v_fma_f64 v[46:47], s[0:1], v[82:83], v[44:45]
	v_add_f64 v[50:51], v[50:51], v[54:55]
	v_mul_f64 v[62:63], v[130:131], s[12:13]
	v_fma_f64 v[68:69], v[102:103], s[26:27], -v[66:67]
	v_add_f64 v[72:73], v[72:73], v[140:141]
	v_fmac_f64_e32 v[34:35], s[18:19], v[92:93]
	v_add_f64 v[28:29], v[38:39], v[28:29]
	v_mul_f64 v[38:39], v[110:111], s[48:49]
	v_fma_f64 v[42:43], s[38:39], v[80:81], v[40:41]
	v_add_f64 v[46:47], v[46:47], v[50:51]
	v_mul_f64 v[54:55], v[128:129], s[44:45]
	v_fma_f64 v[64:65], v[100:101], s[0:1], -v[62:63]
	v_add_f64 v[68:69], v[68:69], v[72:73]
	v_add_f64 v[28:29], v[34:35], v[28:29]
	v_mul_f64 v[36:37], v[108:109], s[28:29]
	v_fma_f64 v[34:35], s[8:9], v[78:79], v[38:39]
	v_add_f64 v[42:43], v[42:43], v[46:47]
	v_mul_f64 v[46:47], v[126:127], s[48:49]
	v_fma_f64 v[58:59], v[98:99], s[38:39], -v[54:55]
	v_add_f64 v[64:65], v[64:65], v[68:69]
	v_fma_f64 v[32:33], s[22:23], v[76:77], v[36:37]
	v_add_f64 v[34:35], v[34:35], v[42:43]
	v_mul_f64 v[42:43], v[124:125], s[28:29]
	v_fma_f64 v[50:51], v[94:95], s[8:9], -v[46:47]
	v_add_f64 v[58:59], v[58:59], v[64:65]
	v_add_f64 v[34:35], v[32:33], v[34:35]
	v_fma_f64 v[32:33], v[92:93], s[22:23], -v[42:43]
	v_add_f64 v[50:51], v[50:51], v[58:59]
	v_add_f64 v[32:33], v[32:33], v[50:51]
	v_fma_f64 v[50:51], v[86:87], s[18:19], -v[52:53]
	v_fma_f64 v[52:53], v[88:89], s[14:15], -v[56:57]
	v_fma_f64 v[56:57], v[90:91], s[30:31], -v[60:61]
	v_add_f64 v[56:57], v[2:3], v[56:57]
	v_add_f64 v[52:53], v[52:53], v[56:57]
	v_fma_f64 v[48:49], v[84:85], s[26:27], -v[48:49]
	v_add_f64 v[50:51], v[50:51], v[52:53]
	v_fma_f64 v[44:45], v[82:83], s[0:1], -v[44:45]
	;; [unrolled: 2-line block ×5, first 2 shown]
	v_add_f64 v[38:39], v[38:39], v[40:41]
	v_fmac_f64_e32 v[142:143], s[30:31], v[106:107]
	v_add_f64 v[38:39], v[36:37], v[38:39]
	v_fmac_f64_e32 v[74:75], s[14:15], v[104:105]
	;; [unrolled: 2-line block ×3, first 2 shown]
	v_add_f64 v[36:37], v[74:75], v[36:37]
	v_mul_f64 v[68:69], v[122:123], s[36:37]
	v_fmac_f64_e32 v[66:67], s[26:27], v[102:103]
	v_add_f64 v[36:37], v[70:71], v[36:37]
	v_mul_f64 v[64:65], v[120:121], s[46:47]
	v_fma_f64 v[70:71], s[26:27], v[90:91], v[68:69]
	v_mul_f64 v[154:155], v[138:139], s[36:37]
	v_fmac_f64_e32 v[62:63], s[0:1], v[100:101]
	v_add_f64 v[36:37], v[66:67], v[36:37]
	v_mul_f64 v[60:61], v[118:119], s[12:13]
	v_fma_f64 v[66:67], s[22:23], v[88:89], v[64:65]
	v_add_f64 v[70:71], v[2:3], v[70:71]
	v_mul_f64 v[146:147], v[136:137], s[46:47]
	v_fma_f64 v[156:157], v[106:107], s[26:27], -v[154:155]
	v_add_f64 v[36:37], v[62:63], v[36:37]
	v_mul_f64 v[56:57], v[116:117], s[40:41]
	v_fma_f64 v[62:63], s[0:1], v[86:87], v[60:61]
	v_add_f64 v[66:67], v[66:67], v[70:71]
	v_mul_f64 v[142:143], v[134:135], s[12:13]
	v_fma_f64 v[152:153], v[104:105], s[22:23], -v[146:147]
	v_add_f64 v[156:157], v[0:1], v[156:157]
	v_fmac_f64_e32 v[54:55], s[38:39], v[98:99]
	v_mul_f64 v[52:53], v[114:115], s[56:57]
	v_fma_f64 v[58:59], s[30:31], v[84:85], v[56:57]
	v_add_f64 v[62:63], v[62:63], v[66:67]
	v_mul_f64 v[74:75], v[132:133], s[40:41]
	v_fma_f64 v[144:145], v[96:97], s[0:1], -v[142:143]
	v_add_f64 v[152:153], v[152:153], v[156:157]
	v_fmac_f64_e32 v[46:47], s[8:9], v[94:95]
	v_add_f64 v[36:37], v[54:55], v[36:37]
	v_mul_f64 v[48:49], v[112:113], s[16:17]
	v_fma_f64 v[54:55], s[18:19], v[82:83], v[52:53]
	v_add_f64 v[58:59], v[58:59], v[62:63]
	v_mul_f64 v[70:71], v[130:131], s[56:57]
	v_fma_f64 v[140:141], v[102:103], s[30:31], -v[74:75]
	v_add_f64 v[144:145], v[144:145], v[152:153]
	v_fmac_f64_e32 v[42:43], s[22:23], v[92:93]
	v_add_f64 v[36:37], v[46:47], v[36:37]
	v_mul_f64 v[46:47], v[110:111], s[44:45]
	v_fma_f64 v[50:51], s[8:9], v[80:81], v[48:49]
	v_add_f64 v[54:55], v[54:55], v[58:59]
	v_mul_f64 v[62:63], v[128:129], s[16:17]
	v_fma_f64 v[72:73], v[100:101], s[18:19], -v[70:71]
	v_add_f64 v[140:141], v[140:141], v[144:145]
	v_add_f64 v[36:37], v[42:43], v[36:37]
	v_mul_f64 v[44:45], v[108:109], s[42:43]
	v_fma_f64 v[42:43], s[38:39], v[78:79], v[46:47]
	v_add_f64 v[50:51], v[50:51], v[54:55]
	v_mul_f64 v[54:55], v[126:127], s[44:45]
	v_fma_f64 v[66:67], v[98:99], s[8:9], -v[62:63]
	v_add_f64 v[72:73], v[72:73], v[140:141]
	v_fma_f64 v[40:41], s[14:15], v[76:77], v[44:45]
	v_add_f64 v[42:43], v[42:43], v[50:51]
	v_mul_f64 v[50:51], v[124:125], s[42:43]
	v_fma_f64 v[58:59], v[94:95], s[38:39], -v[54:55]
	v_add_f64 v[66:67], v[66:67], v[72:73]
	v_add_f64 v[42:43], v[40:41], v[42:43]
	v_fma_f64 v[40:41], v[92:93], s[14:15], -v[50:51]
	v_add_f64 v[58:59], v[58:59], v[66:67]
	v_add_f64 v[40:41], v[40:41], v[58:59]
	v_fma_f64 v[58:59], v[86:87], s[0:1], -v[60:61]
	v_fma_f64 v[60:61], v[88:89], s[22:23], -v[64:65]
	;; [unrolled: 1-line block ×3, first 2 shown]
	v_add_f64 v[64:65], v[2:3], v[64:65]
	v_add_f64 v[60:61], v[60:61], v[64:65]
	v_fma_f64 v[56:57], v[84:85], s[30:31], -v[56:57]
	v_add_f64 v[58:59], v[58:59], v[60:61]
	v_fma_f64 v[52:53], v[82:83], s[18:19], -v[52:53]
	;; [unrolled: 2-line block ×5, first 2 shown]
	v_add_f64 v[46:47], v[46:47], v[48:49]
	v_fmac_f64_e32 v[154:155], s[26:27], v[106:107]
	v_add_f64 v[46:47], v[44:45], v[46:47]
	v_fmac_f64_e32 v[146:147], s[22:23], v[104:105]
	;; [unrolled: 2-line block ×3, first 2 shown]
	v_add_f64 v[44:45], v[146:147], v[44:45]
	v_mul_f64 v[140:141], v[122:123], s[28:29]
	v_accvgpr_write_b32 a47, v27
	v_fmac_f64_e32 v[74:75], s[30:31], v[102:103]
	v_add_f64 v[44:45], v[142:143], v[44:45]
	v_mul_f64 v[72:73], v[120:121], s[50:51]
	v_fma_f64 v[142:143], s[22:23], v[90:91], v[140:141]
	v_accvgpr_write_b32 a3, v162
	v_accvgpr_write_b32 a72, v163
	v_mul_f64 v[162:163], v[138:139], s[28:29]
	v_accvgpr_write_b32 a46, v26
	v_accvgpr_write_b32 a45, v25
	;; [unrolled: 1-line block ×3, first 2 shown]
	v_fmac_f64_e32 v[70:71], s[18:19], v[100:101]
	v_add_f64 v[44:45], v[74:75], v[44:45]
	v_mul_f64 v[68:69], v[118:119], s[48:49]
	v_fma_f64 v[74:75], s[30:31], v[88:89], v[72:73]
	v_add_f64 v[142:143], v[2:3], v[142:143]
	v_mul_f64 v[158:159], v[136:137], s[50:51]
	v_fma_f64 v[24:25], v[106:107], s[22:23], -v[162:163]
	v_add_f64 v[44:45], v[70:71], v[44:45]
	v_mul_f64 v[64:65], v[116:117], s[20:21]
	v_fma_f64 v[70:71], s[8:9], v[86:87], v[68:69]
	v_add_f64 v[74:75], v[74:75], v[142:143]
	v_mul_f64 v[154:155], v[134:135], s[48:49]
	v_mov_b32_e32 v149, v160
	v_accvgpr_write_b32 a73, v235
	v_mov_b32_e32 v235, v161
	v_fma_f64 v[160:161], v[104:105], s[30:31], -v[158:159]
	v_add_f64 v[24:25], v[0:1], v[24:25]
	v_fmac_f64_e32 v[62:63], s[8:9], v[98:99]
	v_mul_f64 v[60:61], v[114:115], s[44:45]
	v_fma_f64 v[66:67], s[14:15], v[84:85], v[64:65]
	v_add_f64 v[70:71], v[70:71], v[74:75]
	v_mul_f64 v[146:147], v[132:133], s[20:21]
	v_fma_f64 v[156:157], v[96:97], s[8:9], -v[154:155]
	v_add_f64 v[24:25], v[160:161], v[24:25]
	v_fmac_f64_e32 v[54:55], s[38:39], v[94:95]
	v_add_f64 v[44:45], v[62:63], v[44:45]
	v_mul_f64 v[56:57], v[112:113], s[56:57]
	v_fma_f64 v[62:63], s[38:39], v[82:83], v[60:61]
	v_add_f64 v[66:67], v[66:67], v[70:71]
	v_mul_f64 v[142:143], v[130:131], s[44:45]
	v_fma_f64 v[152:153], v[102:103], s[14:15], -v[146:147]
	v_add_f64 v[24:25], v[156:157], v[24:25]
	v_fmac_f64_e32 v[50:51], s[14:15], v[92:93]
	v_add_f64 v[44:45], v[54:55], v[44:45]
	v_mul_f64 v[54:55], v[110:111], s[12:13]
	v_fma_f64 v[58:59], s[18:19], v[80:81], v[56:57]
	v_add_f64 v[62:63], v[62:63], v[66:67]
	v_mul_f64 v[70:71], v[128:129], s[56:57]
	v_fma_f64 v[144:145], v[100:101], s[38:39], -v[142:143]
	v_add_f64 v[24:25], v[152:153], v[24:25]
	v_add_f64 v[44:45], v[50:51], v[44:45]
	v_mul_f64 v[52:53], v[108:109], s[36:37]
	v_fma_f64 v[50:51], s[0:1], v[78:79], v[54:55]
	v_add_f64 v[58:59], v[58:59], v[62:63]
	v_mul_f64 v[62:63], v[126:127], s[12:13]
	v_fma_f64 v[74:75], v[98:99], s[18:19], -v[70:71]
	v_add_f64 v[24:25], v[144:145], v[24:25]
	v_fma_f64 v[48:49], s[26:27], v[76:77], v[52:53]
	v_add_f64 v[50:51], v[50:51], v[58:59]
	v_mul_f64 v[58:59], v[124:125], s[36:37]
	v_fma_f64 v[66:67], v[94:95], s[0:1], -v[62:63]
	v_add_f64 v[24:25], v[74:75], v[24:25]
	v_add_f64 v[50:51], v[48:49], v[50:51]
	v_fma_f64 v[48:49], v[92:93], s[26:27], -v[58:59]
	v_add_f64 v[24:25], v[66:67], v[24:25]
	v_fma_f64 v[66:67], v[90:91], s[22:23], -v[140:141]
	;; [unrolled: 2-line block ×3, first 2 shown]
	v_fma_f64 v[52:53], v[80:81], s[18:19], -v[56:57]
	v_fma_f64 v[56:57], v[84:85], s[14:15], -v[64:65]
	;; [unrolled: 1-line block ×3, first 2 shown]
	v_add_f64 v[66:67], v[2:3], v[66:67]
	v_fma_f64 v[26:27], v[78:79], s[0:1], -v[54:55]
	v_fma_f64 v[54:55], v[82:83], s[38:39], -v[60:61]
	;; [unrolled: 1-line block ×3, first 2 shown]
	v_add_f64 v[64:65], v[64:65], v[66:67]
	v_add_f64 v[60:61], v[60:61], v[64:65]
	;; [unrolled: 1-line block ×6, first 2 shown]
	v_fmac_f64_e32 v[162:163], s[22:23], v[106:107]
	v_add_f64 v[54:55], v[24:25], v[26:27]
	v_fmac_f64_e32 v[158:159], s[30:31], v[104:105]
	v_add_f64 v[24:25], v[0:1], v[162:163]
	;; [unrolled: 2-line block ×4, first 2 shown]
	v_mul_f64 v[144:145], v[122:123], s[24:25]
	v_fmac_f64_e32 v[142:143], s[38:39], v[100:101]
	v_add_f64 v[24:25], v[146:147], v[24:25]
	v_mul_f64 v[140:141], v[120:121], s[44:45]
	v_fma_f64 v[146:147], s[18:19], v[90:91], v[144:145]
	v_accvgpr_write_b32 a74, v164
	v_add_f64 v[24:25], v[142:143], v[24:25]
	v_mul_f64 v[72:73], v[118:119], s[46:47]
	v_fma_f64 v[142:143], s[38:39], v[88:89], v[140:141]
	v_add_f64 v[146:147], v[2:3], v[146:147]
	v_accvgpr_write_b32 a75, v165
	v_accvgpr_write_b32 a76, v166
	v_accvgpr_write_b32 a77, v167
	v_mul_f64 v[166:167], v[138:139], s[24:25]
	v_accvgpr_write_b32 a78, v168
	v_fmac_f64_e32 v[70:71], s[18:19], v[98:99]
	v_mul_f64 v[68:69], v[116:117], s[34:35]
	v_fma_f64 v[74:75], s[22:23], v[86:87], v[72:73]
	v_add_f64 v[142:143], v[142:143], v[146:147]
	v_mul_f64 v[162:163], v[136:137], s[44:45]
	v_accvgpr_write_b32 a79, v169
	v_accvgpr_write_b32 a80, v170
	;; [unrolled: 1-line block ×3, first 2 shown]
	v_fma_f64 v[168:169], v[106:107], s[18:19], -v[166:167]
	v_fmac_f64_e32 v[62:63], s[0:1], v[94:95]
	v_add_f64 v[24:25], v[70:71], v[24:25]
	v_mul_f64 v[64:65], v[114:115], s[20:21]
	v_fma_f64 v[70:71], s[0:1], v[84:85], v[68:69]
	v_add_f64 v[74:75], v[74:75], v[142:143]
	v_mul_f64 v[158:159], v[134:135], s[46:47]
	v_fma_f64 v[164:165], v[104:105], s[38:39], -v[162:163]
	v_add_f64 v[168:169], v[0:1], v[168:169]
	v_fmac_f64_e32 v[58:59], s[26:27], v[92:93]
	v_add_f64 v[24:25], v[62:63], v[24:25]
	v_mul_f64 v[62:63], v[112:113], s[40:41]
	v_fma_f64 v[66:67], s[14:15], v[82:83], v[64:65]
	v_add_f64 v[70:71], v[70:71], v[74:75]
	v_mul_f64 v[154:155], v[132:133], s[34:35]
	v_fma_f64 v[160:161], v[96:97], s[22:23], -v[158:159]
	v_add_f64 v[164:165], v[164:165], v[168:169]
	v_add_f64 v[52:53], v[58:59], v[24:25]
	v_mul_f64 v[60:61], v[110:111], s[54:55]
	v_fma_f64 v[58:59], s[30:31], v[80:81], v[62:63]
	v_add_f64 v[66:67], v[66:67], v[70:71]
	v_mul_f64 v[146:147], v[130:131], s[20:21]
	v_fma_f64 v[156:157], v[102:103], s[0:1], -v[154:155]
	v_add_f64 v[160:161], v[160:161], v[164:165]
	v_mul_f64 v[24:25], v[108:109], s[48:49]
	v_fma_f64 v[56:57], s[26:27], v[78:79], v[60:61]
	v_add_f64 v[58:59], v[58:59], v[66:67]
	v_mul_f64 v[74:75], v[128:129], s[40:41]
	v_fma_f64 v[152:153], v[100:101], s[14:15], -v[146:147]
	v_add_f64 v[156:157], v[156:157], v[160:161]
	v_fma_f64 v[26:27], s[8:9], v[76:77], v[24:25]
	v_add_f64 v[56:57], v[56:57], v[58:59]
	v_mul_f64 v[66:67], v[126:127], s[54:55]
	v_fma_f64 v[142:143], v[98:99], s[30:31], -v[74:75]
	v_add_f64 v[152:153], v[152:153], v[156:157]
	v_add_f64 v[58:59], v[26:27], v[56:57]
	v_mul_f64 v[26:27], v[124:125], s[48:49]
	v_fma_f64 v[70:71], v[94:95], s[26:27], -v[66:67]
	v_add_f64 v[142:143], v[142:143], v[152:153]
	v_fma_f64 v[56:57], v[92:93], s[8:9], -v[26:27]
	v_add_f64 v[70:71], v[70:71], v[142:143]
	v_add_f64 v[56:57], v[56:57], v[70:71]
	v_fma_f64 v[70:71], v[86:87], s[22:23], -v[72:73]
	v_fma_f64 v[72:73], v[88:89], s[38:39], -v[140:141]
	;; [unrolled: 1-line block ×3, first 2 shown]
	v_add_f64 v[140:141], v[2:3], v[140:141]
	v_add_f64 v[72:73], v[72:73], v[140:141]
	v_fma_f64 v[68:69], v[84:85], s[0:1], -v[68:69]
	v_add_f64 v[70:71], v[70:71], v[72:73]
	v_fma_f64 v[64:65], v[82:83], s[14:15], -v[64:65]
	;; [unrolled: 2-line block ×5, first 2 shown]
	v_add_f64 v[60:61], v[60:61], v[62:63]
	v_fmac_f64_e32 v[166:167], s[18:19], v[106:107]
	v_add_f64 v[62:63], v[24:25], v[60:61]
	v_fmac_f64_e32 v[162:163], s[38:39], v[104:105]
	;; [unrolled: 2-line block ×3, first 2 shown]
	v_add_f64 v[24:25], v[162:163], v[24:25]
	v_mul_f64 v[156:157], v[122:123], s[20:21]
	v_fmac_f64_e32 v[154:155], s[0:1], v[102:103]
	v_add_f64 v[24:25], v[158:159], v[24:25]
	v_mul_f64 v[152:153], v[120:121], s[36:37]
	v_fma_f64 v[158:159], s[14:15], v[90:91], v[156:157]
	v_accvgpr_write_b32 a82, v172
	v_fmac_f64_e32 v[146:147], s[14:15], v[100:101]
	v_add_f64 v[24:25], v[154:155], v[24:25]
	v_mul_f64 v[144:145], v[118:119], s[52:53]
	v_fma_f64 v[154:155], s[26:27], v[88:89], v[152:153]
	v_add_f64 v[158:159], v[2:3], v[158:159]
	v_accvgpr_write_b32 a83, v173
	v_accvgpr_write_b32 a84, v174
	;; [unrolled: 1-line block ×3, first 2 shown]
	v_mul_f64 v[174:175], v[138:139], s[20:21]
	v_accvgpr_write_b32 a86, v176
	v_add_f64 v[24:25], v[146:147], v[24:25]
	v_mul_f64 v[140:141], v[116:117], s[46:47]
	v_fma_f64 v[146:147], s[38:39], v[86:87], v[144:145]
	v_add_f64 v[154:155], v[154:155], v[158:159]
	v_mul_f64 v[170:171], v[136:137], s[36:37]
	v_accvgpr_write_b32 a87, v177
	v_accvgpr_write_b32 a88, v178
	;; [unrolled: 1-line block ×3, first 2 shown]
	v_fma_f64 v[176:177], v[106:107], s[14:15], -v[174:175]
	v_fmac_f64_e32 v[74:75], s[30:31], v[98:99]
	v_mul_f64 v[72:73], v[114:115], s[48:49]
	v_fma_f64 v[142:143], s[22:23], v[84:85], v[140:141]
	v_add_f64 v[146:147], v[146:147], v[154:155]
	v_mul_f64 v[166:167], v[134:135], s[52:53]
	v_fma_f64 v[172:173], v[104:105], s[26:27], -v[170:171]
	v_add_f64 v[176:177], v[0:1], v[176:177]
	v_fmac_f64_e32 v[66:67], s[26:27], v[94:95]
	v_add_f64 v[24:25], v[74:75], v[24:25]
	v_mul_f64 v[70:71], v[112:113], s[12:13]
	v_fma_f64 v[74:75], s[8:9], v[82:83], v[72:73]
	v_add_f64 v[142:143], v[142:143], v[146:147]
	v_mul_f64 v[162:163], v[132:133], s[46:47]
	v_fma_f64 v[168:169], v[96:97], s[38:39], -v[166:167]
	v_add_f64 v[172:173], v[172:173], v[176:177]
	v_fmac_f64_e32 v[26:27], s[8:9], v[92:93]
	v_add_f64 v[24:25], v[66:67], v[24:25]
	v_mul_f64 v[68:69], v[110:111], s[24:25]
	v_fma_f64 v[66:67], s[0:1], v[80:81], v[70:71]
	v_add_f64 v[74:75], v[74:75], v[142:143]
	v_mul_f64 v[158:159], v[130:131], s[48:49]
	v_fma_f64 v[164:165], v[102:103], s[22:23], -v[162:163]
	v_add_f64 v[168:169], v[168:169], v[172:173]
	v_add_f64 v[60:61], v[26:27], v[24:25]
	v_mul_f64 v[24:25], v[108:109], s[40:41]
	v_fma_f64 v[64:65], s[18:19], v[78:79], v[68:69]
	v_add_f64 v[66:67], v[66:67], v[74:75]
	v_mul_f64 v[146:147], v[128:129], s[12:13]
	v_fma_f64 v[160:161], v[100:101], s[8:9], -v[158:159]
	v_add_f64 v[164:165], v[164:165], v[168:169]
	v_fma_f64 v[26:27], s[30:31], v[76:77], v[24:25]
	v_add_f64 v[64:65], v[64:65], v[66:67]
	v_mul_f64 v[142:143], v[126:127], s[24:25]
	v_fma_f64 v[154:155], v[98:99], s[0:1], -v[146:147]
	v_add_f64 v[160:161], v[160:161], v[164:165]
	v_add_f64 v[66:67], v[26:27], v[64:65]
	v_mul_f64 v[26:27], v[124:125], s[40:41]
	v_fma_f64 v[74:75], v[94:95], s[18:19], -v[142:143]
	v_add_f64 v[154:155], v[154:155], v[160:161]
	v_fma_f64 v[64:65], v[92:93], s[30:31], -v[26:27]
	v_add_f64 v[74:75], v[74:75], v[154:155]
	v_add_f64 v[64:65], v[64:65], v[74:75]
	v_fma_f64 v[74:75], v[84:85], s[22:23], -v[140:141]
	v_fma_f64 v[140:141], v[86:87], s[38:39], -v[144:145]
	;; [unrolled: 1-line block ×4, first 2 shown]
	v_add_f64 v[152:153], v[2:3], v[152:153]
	v_add_f64 v[144:145], v[144:145], v[152:153]
	;; [unrolled: 1-line block ×3, first 2 shown]
	v_fma_f64 v[72:73], v[82:83], s[8:9], -v[72:73]
	v_add_f64 v[74:75], v[74:75], v[140:141]
	v_fma_f64 v[70:71], v[80:81], s[0:1], -v[70:71]
	v_add_f64 v[72:73], v[72:73], v[74:75]
	;; [unrolled: 2-line block ×4, first 2 shown]
	v_fmac_f64_e32 v[174:175], s[14:15], v[106:107]
	v_add_f64 v[74:75], v[24:25], v[68:69]
	v_fmac_f64_e32 v[170:171], s[26:27], v[104:105]
	v_add_f64 v[24:25], v[0:1], v[174:175]
	;; [unrolled: 2-line block ×3, first 2 shown]
	v_mul_f64 v[164:165], v[122:123], s[16:17]
	v_fmac_f64_e32 v[162:163], s[22:23], v[102:103]
	v_add_f64 v[24:25], v[166:167], v[24:25]
	v_mul_f64 v[160:161], v[120:121], s[24:25]
	v_fma_f64 v[166:167], s[8:9], v[90:91], v[164:165]
	v_accvgpr_write_b32 a90, v180
	v_fmac_f64_e32 v[158:159], s[8:9], v[100:101]
	v_add_f64 v[24:25], v[162:163], v[24:25]
	v_mul_f64 v[156:157], v[118:119], s[36:37]
	v_fma_f64 v[162:163], s[18:19], v[88:89], v[160:161]
	v_add_f64 v[166:167], v[2:3], v[166:167]
	v_accvgpr_write_b32 a91, v181
	v_accvgpr_write_b32 a92, v182
	;; [unrolled: 1-line block ×3, first 2 shown]
	v_mul_f64 v[182:183], v[138:139], s[16:17]
	v_fmac_f64_e32 v[146:147], s[0:1], v[98:99]
	v_add_f64 v[24:25], v[158:159], v[24:25]
	v_mul_f64 v[152:153], v[116:117], s[44:45]
	v_fma_f64 v[158:159], s[26:27], v[86:87], v[156:157]
	v_add_f64 v[162:163], v[162:163], v[166:167]
	v_mul_f64 v[178:179], v[136:137], s[24:25]
	v_fma_f64 v[200:201], v[106:107], s[8:9], -v[182:183]
	v_fmac_f64_e32 v[142:143], s[18:19], v[94:95]
	v_add_f64 v[24:25], v[146:147], v[24:25]
	v_mul_f64 v[144:145], v[114:115], s[50:51]
	v_fma_f64 v[154:155], s[38:39], v[84:85], v[152:153]
	v_add_f64 v[158:159], v[158:159], v[162:163]
	v_mul_f64 v[174:175], v[134:135], s[36:37]
	v_fma_f64 v[180:181], v[104:105], s[18:19], -v[178:179]
	v_add_f64 v[200:201], v[0:1], v[200:201]
	v_add_f64 v[24:25], v[142:143], v[24:25]
	v_mul_f64 v[142:143], v[112:113], s[46:47]
	v_fma_f64 v[146:147], s[30:31], v[82:83], v[144:145]
	v_add_f64 v[154:155], v[154:155], v[158:159]
	v_mul_f64 v[170:171], v[132:133], s[44:45]
	v_fma_f64 v[176:177], v[96:97], s[26:27], -v[174:175]
	v_add_f64 v[180:181], v[180:181], v[200:201]
	v_fmac_f64_e32 v[26:27], s[30:31], v[92:93]
	v_mul_f64 v[140:141], v[110:111], s[42:43]
	v_fma_f64 v[70:71], s[22:23], v[80:81], v[142:143]
	v_add_f64 v[146:147], v[146:147], v[154:155]
	v_mul_f64 v[166:167], v[130:131], s[50:51]
	v_fma_f64 v[172:173], v[102:103], s[38:39], -v[170:171]
	v_add_f64 v[176:177], v[176:177], v[180:181]
	v_add_f64 v[72:73], v[26:27], v[24:25]
	v_mul_f64 v[24:25], v[108:109], s[34:35]
	v_fma_f64 v[68:69], s[14:15], v[78:79], v[140:141]
	v_add_f64 v[70:71], v[70:71], v[146:147]
	v_mul_f64 v[158:159], v[128:129], s[46:47]
	v_fma_f64 v[168:169], v[100:101], s[30:31], -v[166:167]
	v_add_f64 v[172:173], v[172:173], v[176:177]
	v_fma_f64 v[26:27], s[0:1], v[76:77], v[24:25]
	v_add_f64 v[68:69], v[68:69], v[70:71]
	v_mul_f64 v[154:155], v[126:127], s[42:43]
	v_fma_f64 v[162:163], v[98:99], s[22:23], -v[158:159]
	v_add_f64 v[168:169], v[168:169], v[172:173]
	v_add_f64 v[70:71], v[26:27], v[68:69]
	v_mul_f64 v[26:27], v[124:125], s[34:35]
	v_fma_f64 v[146:147], v[94:95], s[14:15], -v[154:155]
	v_add_f64 v[162:163], v[162:163], v[168:169]
	v_fma_f64 v[68:69], v[92:93], s[0:1], -v[26:27]
	v_add_f64 v[146:147], v[146:147], v[162:163]
	v_add_f64 v[68:69], v[68:69], v[146:147]
	v_fma_f64 v[146:147], v[84:85], s[38:39], -v[152:153]
	v_fma_f64 v[152:153], v[86:87], s[26:27], -v[156:157]
	;; [unrolled: 1-line block ×4, first 2 shown]
	v_add_f64 v[160:161], v[2:3], v[160:161]
	v_add_f64 v[156:157], v[156:157], v[160:161]
	;; [unrolled: 1-line block ×3, first 2 shown]
	v_fma_f64 v[144:145], v[82:83], s[30:31], -v[144:145]
	v_add_f64 v[146:147], v[146:147], v[152:153]
	v_fma_f64 v[142:143], v[80:81], s[22:23], -v[142:143]
	v_add_f64 v[144:145], v[144:145], v[146:147]
	v_fma_f64 v[140:141], v[78:79], s[14:15], -v[140:141]
	v_add_f64 v[142:143], v[142:143], v[144:145]
	v_fma_f64 v[24:25], v[76:77], s[0:1], -v[24:25]
	v_add_f64 v[140:141], v[140:141], v[142:143]
	v_fmac_f64_e32 v[182:183], s[8:9], v[106:107]
	v_add_f64 v[146:147], v[24:25], v[140:141]
	v_fmac_f64_e32 v[178:179], s[18:19], v[104:105]
	v_add_f64 v[24:25], v[0:1], v[182:183]
	;; [unrolled: 2-line block ×8, first 2 shown]
	v_add_f64 v[144:145], v[26:27], v[24:25]
	v_mul_f64 v[24:25], v[108:109], s[44:45]
	v_mul_f64 v[140:141], v[110:111], s[40:41]
	;; [unrolled: 1-line block ×8, first 2 shown]
	v_fma_f64 v[26:27], s[38:39], v[76:77], v[24:25]
	v_fma_f64 v[108:109], s[30:31], v[78:79], v[140:141]
	;; [unrolled: 1-line block ×7, first 2 shown]
	v_fma_f64 v[24:25], v[76:77], s[38:39], -v[24:25]
	v_fma_f64 v[76:77], v[78:79], s[30:31], -v[140:141]
	;; [unrolled: 1-line block ×8, first 2 shown]
	v_add_f64 v[88:89], v[2:3], v[88:89]
	v_add_f64 v[86:87], v[86:87], v[88:89]
	;; [unrolled: 1-line block ×5, first 2 shown]
	v_mul_f64 v[138:139], v[138:139], s[12:13]
	v_add_f64 v[78:79], v[78:79], v[80:81]
	v_fma_f64 v[158:159], s[0:1], v[90:91], v[122:123]
	v_fma_f64 v[160:161], v[106:107], s[0:1], -v[138:139]
	v_add_f64 v[76:77], v[76:77], v[78:79]
	v_fmac_f64_e32 v[138:139], s[0:1], v[106:107]
	v_add_f64 v[158:159], v[2:3], v[158:159]
	v_add_f64 v[160:161], v[0:1], v[160:161]
	;; [unrolled: 1-line block ×24, first 2 shown]
	v_mul_f64 v[136:137], v[136:137], s[16:17]
	v_add_f64 v[2:3], v[2:3], v[228:229]
	v_add_f64 v[0:1], v[0:1], v[226:227]
	;; [unrolled: 1-line block ×3, first 2 shown]
	v_mul_f64 v[134:135], v[134:135], s[20:21]
	v_fma_f64 v[158:159], v[104:105], s[8:9], -v[136:137]
	v_fmac_f64_e32 v[136:137], s[8:9], v[104:105]
	v_add_f64 v[2:3], v[2:3], v[224:225]
	v_add_f64 v[0:1], v[0:1], v[222:223]
	v_add_f64 v[142:143], v[142:143], v[152:153]
	v_mul_f64 v[132:133], v[132:133], s[24:25]
	v_fma_f64 v[156:157], v[96:97], s[14:15], -v[134:135]
	v_add_f64 v[158:159], v[158:159], v[160:161]
	v_fmac_f64_e32 v[134:135], s[14:15], v[96:97]
	v_add_f64 v[24:25], v[136:137], v[24:25]
	v_add_f64 v[2:3], v[2:3], v[220:221]
	v_add_f64 v[0:1], v[0:1], v[218:219]
	v_add_f64 v[110:111], v[110:111], v[142:143]
	v_mul_f64 v[130:131], v[130:131], s[28:29]
	v_fma_f64 v[154:155], v[102:103], s[18:19], -v[132:133]
	v_add_f64 v[156:157], v[156:157], v[158:159]
	v_fmac_f64_e32 v[132:133], s[18:19], v[102:103]
	v_add_f64 v[24:25], v[134:135], v[24:25]
	;; [unrolled: 8-line block ×3, first 2 shown]
	v_add_f64 v[2:3], v[2:3], v[212:213]
	v_add_f64 v[0:1], v[0:1], v[210:211]
	;; [unrolled: 1-line block ×3, first 2 shown]
	v_mul_f64 v[26:27], v[124:125], s[44:45]
	v_mul_f64 v[124:125], v[126:127], s[40:41]
	v_fma_f64 v[142:143], v[98:99], s[26:27], -v[128:129]
	v_add_f64 v[152:153], v[152:153], v[154:155]
	v_fmac_f64_e32 v[128:129], s[26:27], v[98:99]
	v_add_f64 v[24:25], v[130:131], v[24:25]
	v_add_f64 v[2:3], v[2:3], v[208:209]
	v_add_f64 v[0:1], v[0:1], v[206:207]
	v_accvgpr_read_b32 v183, a93
	v_accvgpr_read_b32 v179, a89
	;; [unrolled: 1-line block ×5, first 2 shown]
	v_fma_f64 v[126:127], v[94:95], s[30:31], -v[124:125]
	v_add_f64 v[142:143], v[142:143], v[152:153]
	v_fmac_f64_e32 v[124:125], s[30:31], v[94:95]
	v_add_f64 v[24:25], v[128:129], v[24:25]
	v_add_f64 v[2:3], v[2:3], v[204:205]
	v_accvgpr_read_b32 v233, a121
	v_accvgpr_read_b32 v239, a125
	;; [unrolled: 1-line block ×7, first 2 shown]
	v_add_f64 v[0:1], v[0:1], v[202:203]
	v_accvgpr_read_b32 v203, a97
	v_accvgpr_read_b32 v163, a72
	;; [unrolled: 1-line block ×18, first 2 shown]
	v_fma_f64 v[108:109], v[92:93], s[38:39], -v[26:27]
	v_add_f64 v[126:127], v[126:127], v[142:143]
	v_fmac_f64_e32 v[26:27], s[38:39], v[92:93]
	v_add_f64 v[24:25], v[124:125], v[24:25]
	v_accvgpr_read_b32 v221, a195
	v_accvgpr_read_b32 v220, a194
	;; [unrolled: 1-line block ×26, first 2 shown]
	v_lshl_add_u32 v4, v235, 4, v149
	v_accvgpr_read_b32 v235, a73
	v_add_f64 v[108:109], v[108:109], v[126:127]
	v_add_f64 v[76:77], v[26:27], v[24:25]
	ds_write_b128 v4, v[0:3]
	ds_write_b128 v4, v[76:79] offset:16
	ds_write_b128 v4, v[144:147] offset:32
	ds_write_b128 v4, v[72:75] offset:48
	ds_write_b128 v4, v[60:63] offset:64
	ds_write_b128 v4, v[52:55] offset:80
	ds_write_b128 v4, v[44:47] offset:96
	ds_write_b128 v4, v[36:39] offset:112
	ds_write_b128 v4, v[28:31] offset:128
	ds_write_b128 v4, a[44:47] offset:144
	ds_write_b128 v4, v[32:35] offset:160
	ds_write_b128 v4, v[40:43] offset:176
	ds_write_b128 v4, v[48:51] offset:192
	ds_write_b128 v4, v[56:59] offset:208
	ds_write_b128 v4, v[64:67] offset:224
	ds_write_b128 v4, v[68:71] offset:240
	ds_write_b128 v4, v[108:111] offset:256
.LBB0_13:
	s_or_b64 exec, exec, s[58:59]
	s_waitcnt lgkmcnt(0)
	; wave barrier
	s_waitcnt lgkmcnt(0)
	ds_read_b128 v[4:7], v148 offset:1360
	ds_read_b128 v[8:11], v148 offset:2720
	ds_read_b128 v[12:15], v148 offset:2992
	ds_read_b128 v[16:19], v148 offset:1632
	ds_read_b128 v[20:23], v148 offset:1904
	ds_read_b128 v[0:3], v148 offset:1088
	s_waitcnt lgkmcnt(5)
	v_mul_f64 v[64:65], v[198:199], v[6:7]
	v_fmac_f64_e32 v[64:65], v[196:197], v[4:5]
	v_mul_f64 v[4:5], v[198:199], v[4:5]
	v_fma_f64 v[28:29], v[196:197], v[6:7], -v[4:5]
	s_waitcnt lgkmcnt(4)
	v_mul_f64 v[4:5], v[194:195], v[8:9]
	v_fma_f64 v[32:33], v[192:193], v[10:11], -v[4:5]
	s_waitcnt lgkmcnt(2)
	v_mul_f64 v[4:5], v[198:199], v[16:17]
	v_fma_f64 v[34:35], v[196:197], v[18:19], -v[4:5]
	ds_read_b128 v[4:7], v148 offset:4080
	v_mul_f64 v[66:67], v[194:195], v[10:11]
	v_fmac_f64_e32 v[66:67], v[192:193], v[8:9]
	v_mul_f64 v[8:9], v[194:195], v[12:13]
	v_fma_f64 v[36:37], v[192:193], v[14:15], -v[8:9]
	ds_read_b128 v[8:11], v148 offset:3808
	s_waitcnt lgkmcnt(1)
	v_mul_f64 v[72:73], v[190:191], v[6:7]
	v_mul_f64 v[38:39], v[194:195], v[14:15]
	v_fmac_f64_e32 v[72:73], v[188:189], v[4:5]
	v_mul_f64 v[4:5], v[190:191], v[4:5]
	v_fmac_f64_e32 v[38:39], v[192:193], v[12:13]
	v_fma_f64 v[74:75], v[188:189], v[6:7], -v[4:5]
	ds_read_b128 v[4:7], v148 offset:4352
	ds_read_b128 v[12:15], v148 offset:4624
	v_mul_f64 v[30:31], v[198:199], v[18:19]
	v_fmac_f64_e32 v[30:31], v[196:197], v[16:17]
	v_accvgpr_read_b32 v24, a170
	s_waitcnt lgkmcnt(1)
	v_mul_f64 v[44:45], v[190:191], v[6:7]
	v_fmac_f64_e32 v[44:45], v[188:189], v[4:5]
	v_mul_f64 v[4:5], v[190:191], v[4:5]
	v_fma_f64 v[40:41], v[188:189], v[6:7], -v[4:5]
	ds_read_b128 v[4:7], v148 offset:5440
	ds_read_b128 v[16:19], v148 offset:5712
	v_accvgpr_read_b32 v26, a172
	v_accvgpr_read_b32 v27, a173
	;; [unrolled: 1-line block ×3, first 2 shown]
	s_waitcnt lgkmcnt(1)
	v_mul_f64 v[104:105], v[186:187], v[6:7]
	v_fmac_f64_e32 v[104:105], v[184:185], v[4:5]
	v_mul_f64 v[4:5], v[186:187], v[4:5]
	v_fma_f64 v[96:97], v[184:185], v[6:7], -v[4:5]
	s_waitcnt lgkmcnt(0)
	v_mul_f64 v[54:55], v[186:187], v[18:19]
	v_mul_f64 v[4:5], v[186:187], v[16:17]
	v_fmac_f64_e32 v[54:55], v[184:185], v[16:17]
	v_fma_f64 v[52:53], v[184:185], v[18:19], -v[4:5]
	v_accvgpr_read_b32 v16, a158
	v_accvgpr_read_b32 v18, a160
	;; [unrolled: 1-line block ×4, first 2 shown]
	v_mul_f64 v[42:43], v[18:19], v[22:23]
	v_mul_f64 v[4:5], v[18:19], v[20:21]
	v_fmac_f64_e32 v[42:43], v[16:17], v[20:21]
	v_fma_f64 v[46:47], v[16:17], v[22:23], -v[4:5]
	ds_read_b128 v[4:7], v148 offset:3264
	ds_read_b128 v[16:19], v148 offset:3536
	v_accvgpr_read_b32 v20, a154
	v_accvgpr_read_b32 v22, a156
	;; [unrolled: 1-line block ×4, first 2 shown]
	s_waitcnt lgkmcnt(1)
	v_mul_f64 v[56:57], v[22:23], v[6:7]
	v_fmac_f64_e32 v[56:57], v[20:21], v[4:5]
	v_mul_f64 v[4:5], v[22:23], v[4:5]
	v_fma_f64 v[48:49], v[20:21], v[6:7], -v[4:5]
	v_accvgpr_read_b32 v20, a174
	v_accvgpr_read_b32 v22, a176
	;; [unrolled: 1-line block ×4, first 2 shown]
	v_mul_f64 v[68:69], v[22:23], v[14:15]
	v_mul_f64 v[4:5], v[22:23], v[12:13]
	v_fmac_f64_e32 v[68:69], v[20:21], v[12:13]
	v_fma_f64 v[50:51], v[20:21], v[14:15], -v[4:5]
	ds_read_b128 v[4:7], v148 offset:5984
	ds_read_b128 v[12:15], v148 offset:6256
	v_accvgpr_read_b32 v20, a166
	v_accvgpr_read_b32 v22, a168
	;; [unrolled: 1-line block ×4, first 2 shown]
	s_waitcnt lgkmcnt(1)
	v_mul_f64 v[70:71], v[22:23], v[6:7]
	v_fmac_f64_e32 v[70:71], v[20:21], v[4:5]
	v_mul_f64 v[4:5], v[22:23], v[4:5]
	v_fma_f64 v[60:61], v[20:21], v[6:7], -v[4:5]
	ds_read_b128 v[4:7], v148 offset:2176
	ds_read_b128 v[20:23], v148 offset:2448
	s_mov_b32 s14, 0x134454ff
	s_mov_b32 s15, 0xbfee6f0e
	;; [unrolled: 1-line block ×3, first 2 shown]
	s_waitcnt lgkmcnt(1)
	v_mul_f64 v[58:59], v[26:27], v[6:7]
	v_fmac_f64_e32 v[58:59], v[24:25], v[4:5]
	v_mul_f64 v[4:5], v[26:27], v[4:5]
	v_fma_f64 v[62:63], v[24:25], v[6:7], -v[4:5]
	v_accvgpr_read_b32 v24, a162
	v_accvgpr_read_b32 v26, a164
	;; [unrolled: 1-line block ×4, first 2 shown]
	v_mul_f64 v[82:83], v[26:27], v[18:19]
	v_mul_f64 v[4:5], v[26:27], v[16:17]
	v_fmac_f64_e32 v[82:83], v[24:25], v[16:17]
	v_fma_f64 v[76:77], v[24:25], v[18:19], -v[4:5]
	ds_read_b128 v[4:7], v148 offset:4896
	ds_read_b128 v[16:19], v148 offset:5168
	v_accvgpr_read_b32 v24, a190
	v_accvgpr_read_b32 v26, a192
	;; [unrolled: 1-line block ×4, first 2 shown]
	s_waitcnt lgkmcnt(1)
	v_mul_f64 v[102:103], v[26:27], v[6:7]
	v_fmac_f64_e32 v[102:103], v[24:25], v[4:5]
	v_mul_f64 v[4:5], v[26:27], v[4:5]
	v_fma_f64 v[80:81], v[24:25], v[6:7], -v[4:5]
	v_accvgpr_read_b32 v24, a182
	v_accvgpr_read_b32 v26, a184
	;; [unrolled: 1-line block ×4, first 2 shown]
	v_mul_f64 v[184:185], v[26:27], v[14:15]
	v_mul_f64 v[4:5], v[26:27], v[12:13]
	v_fmac_f64_e32 v[184:185], v[24:25], v[12:13]
	v_fma_f64 v[100:101], v[24:25], v[14:15], -v[4:5]
	v_accvgpr_read_b32 v12, a186
	v_accvgpr_read_b32 v14, a188
	;; [unrolled: 1-line block ×4, first 2 shown]
	v_mul_f64 v[86:87], v[14:15], v[22:23]
	v_mul_f64 v[4:5], v[14:15], v[20:21]
	v_fmac_f64_e32 v[86:87], v[12:13], v[20:21]
	v_fma_f64 v[78:79], v[12:13], v[22:23], -v[4:5]
	v_accvgpr_read_b32 v12, a178
	v_accvgpr_read_b32 v14, a180
	;; [unrolled: 1-line block ×4, first 2 shown]
	v_mul_f64 v[4:5], v[14:15], v[8:9]
	v_fma_f64 v[84:85], v[12:13], v[10:11], -v[4:5]
	s_waitcnt lgkmcnt(0)
	v_mul_f64 v[4:5], v[246:247], v[16:17]
	v_fma_f64 v[88:89], v[244:245], v[18:19], -v[4:5]
	ds_read_b128 v[4:7], v148 offset:6528
	v_mul_f64 v[94:95], v[246:247], v[18:19]
	v_fmac_f64_e32 v[94:95], v[244:245], v[16:17]
	v_mul_f64 v[90:91], v[14:15], v[10:11]
	v_fmac_f64_e32 v[90:91], v[12:13], v[8:9]
	s_waitcnt lgkmcnt(0)
	v_mul_f64 v[98:99], v[242:243], v[6:7]
	v_fmac_f64_e32 v[98:99], v[240:241], v[4:5]
	v_mul_f64 v[4:5], v[242:243], v[4:5]
	v_fma_f64 v[92:93], v[240:241], v[6:7], -v[4:5]
	ds_read_b128 v[16:19], v148
	ds_read_b128 v[4:7], v148 offset:272
	v_add_f64 v[110:111], v[28:29], -v[96:97]
	s_mov_b32 s13, 0x3fee6f0e
	s_mov_b32 s12, s14
	s_waitcnt lgkmcnt(1)
	v_add_f64 v[8:9], v[16:17], v[64:65]
	v_add_f64 v[10:11], v[18:19], v[28:29]
	;; [unrolled: 1-line block ×8, first 2 shown]
	ds_read_b128 v[12:15], v148 offset:544
	ds_read_b128 v[8:11], v148 offset:816
	s_waitcnt lgkmcnt(0)
	; wave barrier
	s_waitcnt lgkmcnt(0)
	ds_write_b128 v148, v[20:23]
	v_add_f64 v[20:21], v[64:65], -v[66:67]
	v_add_f64 v[22:23], v[104:105], -v[72:73]
	v_add_f64 v[106:107], v[20:21], v[22:23]
	v_add_f64 v[20:21], v[66:67], v[72:73]
	v_fma_f64 v[24:25], -0.5, v[20:21], v[16:17]
	v_add_f64 v[20:21], v[32:33], v[74:75]
	v_fma_f64 v[26:27], -0.5, v[20:21], v[18:19]
	v_add_f64 v[20:21], v[28:29], -v[32:33]
	v_add_f64 v[22:23], v[96:97], -v[74:75]
	;; [unrolled: 1-line block ×3, first 2 shown]
	v_add_f64 v[108:109], v[20:21], v[22:23]
	s_mov_b32 s1, 0xbfe2cf23
	v_add_f64 v[112:113], v[32:33], -v[74:75]
	v_fma_f64 v[20:21], s[14:15], v[110:111], v[24:25]
	s_mov_b32 s8, 0x372fe950
	s_mov_b32 s17, 0x3fe2cf23
	;; [unrolled: 1-line block ×3, first 2 shown]
	v_fma_f64 v[22:23], s[12:13], v[114:115], v[26:27]
	v_add_f64 v[116:117], v[66:67], -v[72:73]
	v_fmac_f64_e32 v[20:21], s[0:1], v[112:113]
	s_mov_b32 s9, 0x3fd3c6ef
	v_fmac_f64_e32 v[22:23], s[16:17], v[116:117]
	v_fmac_f64_e32 v[20:21], s[8:9], v[106:107]
	;; [unrolled: 1-line block ×3, first 2 shown]
	ds_write_b128 v148, v[20:23] offset:272
	v_add_f64 v[20:21], v[64:65], v[104:105]
	v_fmac_f64_e32 v[16:17], -0.5, v[20:21]
	v_add_f64 v[20:21], v[66:67], -v[64:65]
	v_add_f64 v[22:23], v[72:73], -v[104:105]
	v_fma_f64 v[72:73], s[12:13], v[112:113], v[16:17]
	v_fmac_f64_e32 v[16:17], s[14:15], v[112:113]
	v_add_f64 v[20:21], v[20:21], v[22:23]
	v_fmac_f64_e32 v[72:73], s[0:1], v[110:111]
	v_fmac_f64_e32 v[16:17], s[16:17], v[110:111]
	v_fmac_f64_e32 v[72:73], s[8:9], v[20:21]
	v_fmac_f64_e32 v[16:17], s[8:9], v[20:21]
	v_add_f64 v[20:21], v[28:29], v[96:97]
	v_fmac_f64_e32 v[18:19], -0.5, v[20:21]
	v_add_f64 v[20:21], v[32:33], -v[28:29]
	v_add_f64 v[22:23], v[74:75], -v[96:97]
	v_fma_f64 v[74:75], s[14:15], v[116:117], v[18:19]
	v_fmac_f64_e32 v[18:19], s[12:13], v[116:117]
	v_add_f64 v[20:21], v[20:21], v[22:23]
	v_fmac_f64_e32 v[74:75], s[16:17], v[114:115]
	v_fmac_f64_e32 v[18:19], s[0:1], v[114:115]
	;; [unrolled: 1-line block ×4, first 2 shown]
	v_add_f64 v[20:21], v[30:31], -v[38:39]
	v_add_f64 v[22:23], v[54:55], -v[44:45]
	v_add_f64 v[22:23], v[20:21], v[22:23]
	v_add_f64 v[20:21], v[38:39], v[44:45]
	v_fma_f64 v[20:21], -0.5, v[20:21], v[4:5]
	v_add_f64 v[64:65], v[34:35], -v[52:53]
	v_add_f64 v[66:67], v[36:37], -v[40:41]
	v_fma_f64 v[28:29], s[14:15], v[64:65], v[20:21]
	v_fmac_f64_e32 v[20:21], s[12:13], v[64:65]
	v_fmac_f64_e32 v[28:29], s[0:1], v[66:67]
	;; [unrolled: 1-line block ×3, first 2 shown]
	v_add_f64 v[32:33], v[30:31], v[54:55]
	v_fmac_f64_e32 v[28:29], s[8:9], v[22:23]
	v_fmac_f64_e32 v[20:21], s[8:9], v[22:23]
	v_add_f64 v[22:23], v[4:5], v[30:31]
	v_fmac_f64_e32 v[4:5], -0.5, v[32:33]
	v_add_f64 v[32:33], v[38:39], -v[30:31]
	v_add_f64 v[96:97], v[44:45], -v[54:55]
	v_add_f64 v[96:97], v[32:33], v[96:97]
	v_fma_f64 v[32:33], s[12:13], v[66:67], v[4:5]
	v_fmac_f64_e32 v[4:5], s[14:15], v[66:67]
	v_fmac_f64_e32 v[32:33], s[0:1], v[64:65]
	;; [unrolled: 1-line block ×3, first 2 shown]
	v_add_f64 v[22:23], v[22:23], v[38:39]
	v_add_f64 v[64:65], v[6:7], v[34:35]
	;; [unrolled: 1-line block ×7, first 2 shown]
	v_fma_f64 v[22:23], -0.5, v[22:23], v[6:7]
	v_add_f64 v[54:55], v[30:31], -v[54:55]
	v_add_f64 v[38:39], v[38:39], -v[44:45]
	;; [unrolled: 1-line block ×4, first 2 shown]
	v_add_f64 v[44:45], v[30:31], v[44:45]
	v_fma_f64 v[30:31], s[12:13], v[54:55], v[22:23]
	v_fmac_f64_e32 v[22:23], s[14:15], v[54:55]
	v_fmac_f64_e32 v[30:31], s[16:17], v[38:39]
	;; [unrolled: 1-line block ×5, first 2 shown]
	v_add_f64 v[44:45], v[34:35], v[52:53]
	v_fmac_f64_e32 v[6:7], -0.5, v[44:45]
	v_add_f64 v[34:35], v[36:37], -v[34:35]
	v_add_f64 v[36:37], v[40:41], -v[52:53]
	v_add_f64 v[36:37], v[34:35], v[36:37]
	v_fma_f64 v[34:35], s[14:15], v[38:39], v[6:7]
	v_fmac_f64_e32 v[6:7], s[12:13], v[38:39]
	v_fmac_f64_e32 v[34:35], s[16:17], v[54:55]
	;; [unrolled: 1-line block ×5, first 2 shown]
	v_add_f64 v[36:37], v[42:43], -v[56:57]
	v_add_f64 v[38:39], v[70:71], -v[68:69]
	v_add_f64 v[38:39], v[36:37], v[38:39]
	v_add_f64 v[36:37], v[56:57], v[68:69]
	;; [unrolled: 1-line block ×3, first 2 shown]
	v_fma_f64 v[36:37], -0.5, v[36:37], v[12:13]
	v_add_f64 v[52:53], v[46:47], -v[60:61]
	v_add_f64 v[54:55], v[48:49], -v[50:51]
	v_fma_f64 v[40:41], s[14:15], v[52:53], v[36:37]
	v_fmac_f64_e32 v[36:37], s[12:13], v[52:53]
	v_fmac_f64_e32 v[40:41], s[0:1], v[54:55]
	;; [unrolled: 1-line block ×3, first 2 shown]
	v_add_f64 v[44:45], v[42:43], v[70:71]
	v_fmac_f64_e32 v[32:33], s[8:9], v[96:97]
	v_fmac_f64_e32 v[4:5], s[8:9], v[96:97]
	;; [unrolled: 1-line block ×4, first 2 shown]
	v_add_f64 v[38:39], v[12:13], v[42:43]
	v_fmac_f64_e32 v[12:13], -0.5, v[44:45]
	v_add_f64 v[44:45], v[56:57], -v[42:43]
	v_add_f64 v[96:97], v[68:69], -v[70:71]
	v_add_f64 v[96:97], v[44:45], v[96:97]
	v_fma_f64 v[44:45], s[12:13], v[54:55], v[12:13]
	v_fmac_f64_e32 v[12:13], s[14:15], v[54:55]
	v_fmac_f64_e32 v[44:45], s[0:1], v[52:53]
	v_fmac_f64_e32 v[12:13], s[16:17], v[52:53]
	v_add_f64 v[38:39], v[38:39], v[56:57]
	v_add_f64 v[52:53], v[14:15], v[46:47]
	;; [unrolled: 1-line block ×7, first 2 shown]
	v_fma_f64 v[38:39], -0.5, v[38:39], v[14:15]
	v_add_f64 v[70:71], v[42:43], -v[70:71]
	v_add_f64 v[56:57], v[56:57], -v[68:69]
	;; [unrolled: 1-line block ×4, first 2 shown]
	v_add_f64 v[68:69], v[42:43], v[68:69]
	v_fma_f64 v[42:43], s[12:13], v[70:71], v[38:39]
	v_fmac_f64_e32 v[38:39], s[14:15], v[70:71]
	v_fmac_f64_e32 v[42:43], s[16:17], v[56:57]
	v_fmac_f64_e32 v[38:39], s[0:1], v[56:57]
	v_fmac_f64_e32 v[42:43], s[8:9], v[68:69]
	v_fmac_f64_e32 v[38:39], s[8:9], v[68:69]
	v_add_f64 v[68:69], v[46:47], v[60:61]
	v_fmac_f64_e32 v[14:15], -0.5, v[68:69]
	v_add_f64 v[46:47], v[48:49], -v[46:47]
	v_add_f64 v[48:49], v[50:51], -v[60:61]
	v_add_f64 v[48:49], v[46:47], v[48:49]
	v_fma_f64 v[46:47], s[14:15], v[56:57], v[14:15]
	v_fmac_f64_e32 v[14:15], s[12:13], v[56:57]
	v_fmac_f64_e32 v[46:47], s[16:17], v[70:71]
	;; [unrolled: 1-line block ×5, first 2 shown]
	v_add_f64 v[48:49], v[58:59], -v[82:83]
	v_add_f64 v[50:51], v[184:185], -v[102:103]
	v_add_f64 v[50:51], v[48:49], v[50:51]
	v_add_f64 v[48:49], v[82:83], v[102:103]
	v_fma_f64 v[48:49], -0.5, v[48:49], v[8:9]
	v_add_f64 v[68:69], v[62:63], -v[100:101]
	v_add_f64 v[70:71], v[76:77], -v[80:81]
	v_fma_f64 v[56:57], s[14:15], v[68:69], v[48:49]
	v_fmac_f64_e32 v[48:49], s[12:13], v[68:69]
	v_add_f64 v[54:55], v[54:55], v[60:61]
	v_fmac_f64_e32 v[56:57], s[0:1], v[70:71]
	v_fmac_f64_e32 v[48:49], s[16:17], v[70:71]
	v_add_f64 v[60:61], v[58:59], v[184:185]
	v_fmac_f64_e32 v[44:45], s[8:9], v[96:97]
	v_fmac_f64_e32 v[12:13], s[8:9], v[96:97]
	v_fmac_f64_e32 v[56:57], s[8:9], v[50:51]
	v_fmac_f64_e32 v[48:49], s[8:9], v[50:51]
	v_add_f64 v[50:51], v[8:9], v[58:59]
	v_fmac_f64_e32 v[8:9], -0.5, v[60:61]
	v_add_f64 v[60:61], v[82:83], -v[58:59]
	v_add_f64 v[96:97], v[102:103], -v[184:185]
	v_add_f64 v[96:97], v[60:61], v[96:97]
	v_fma_f64 v[60:61], s[12:13], v[70:71], v[8:9]
	v_fmac_f64_e32 v[8:9], s[14:15], v[70:71]
	v_fmac_f64_e32 v[60:61], s[0:1], v[68:69]
	;; [unrolled: 1-line block ×3, first 2 shown]
	v_add_f64 v[50:51], v[50:51], v[82:83]
	v_add_f64 v[68:69], v[10:11], v[62:63]
	;; [unrolled: 1-line block ×7, first 2 shown]
	v_fmac_f64_e32 v[60:61], s[8:9], v[96:97]
	v_fmac_f64_e32 v[8:9], s[8:9], v[96:97]
	v_fma_f64 v[50:51], -0.5, v[50:51], v[10:11]
	v_add_f64 v[96:97], v[58:59], -v[184:185]
	v_add_f64 v[82:83], v[82:83], -v[102:103]
	;; [unrolled: 1-line block ×4, first 2 shown]
	v_add_f64 v[102:103], v[58:59], v[102:103]
	v_fma_f64 v[58:59], s[12:13], v[96:97], v[50:51]
	v_fmac_f64_e32 v[50:51], s[14:15], v[96:97]
	v_fmac_f64_e32 v[58:59], s[16:17], v[82:83]
	;; [unrolled: 1-line block ×5, first 2 shown]
	v_add_f64 v[102:103], v[62:63], v[100:101]
	v_fmac_f64_e32 v[10:11], -0.5, v[102:103]
	v_add_f64 v[62:63], v[76:77], -v[62:63]
	v_add_f64 v[76:77], v[80:81], -v[100:101]
	ds_write_b128 v148, v[72:75] offset:544
	v_add_f64 v[72:73], v[90:91], v[94:95]
	v_add_f64 v[76:77], v[62:63], v[76:77]
	v_fma_f64 v[62:63], s[14:15], v[82:83], v[10:11]
	v_fmac_f64_e32 v[10:11], s[12:13], v[82:83]
	v_fma_f64 v[72:73], -0.5, v[72:73], v[0:1]
	ds_write_b128 v148, v[16:19] offset:816
	v_add_f64 v[16:17], v[86:87], -v[90:91]
	v_add_f64 v[18:19], v[98:99], -v[94:95]
	;; [unrolled: 1-line block ×3, first 2 shown]
	v_fmac_f64_e32 v[62:63], s[16:17], v[96:97]
	v_fmac_f64_e32 v[10:11], s[0:1], v[96:97]
	v_add_f64 v[18:19], v[16:17], v[18:19]
	v_add_f64 v[80:81], v[84:85], -v[88:89]
	v_fma_f64 v[16:17], s[14:15], v[74:75], v[72:73]
	v_fmac_f64_e32 v[72:73], s[12:13], v[74:75]
	v_fmac_f64_e32 v[62:63], s[8:9], v[76:77]
	;; [unrolled: 1-line block ×5, first 2 shown]
	v_add_f64 v[76:77], v[86:87], v[98:99]
	v_fmac_f64_e32 v[16:17], s[8:9], v[18:19]
	v_fmac_f64_e32 v[72:73], s[8:9], v[18:19]
	v_add_f64 v[18:19], v[0:1], v[86:87]
	v_fmac_f64_e32 v[0:1], -0.5, v[76:77]
	v_add_f64 v[76:77], v[90:91], -v[86:87]
	v_add_f64 v[82:83], v[94:95], -v[98:99]
	v_add_f64 v[82:83], v[76:77], v[82:83]
	v_fma_f64 v[76:77], s[12:13], v[80:81], v[0:1]
	v_fmac_f64_e32 v[0:1], s[14:15], v[80:81]
	v_fmac_f64_e32 v[76:77], s[0:1], v[74:75]
	;; [unrolled: 1-line block ×3, first 2 shown]
	v_add_f64 v[18:19], v[18:19], v[90:91]
	v_add_f64 v[74:75], v[2:3], v[78:79]
	;; [unrolled: 1-line block ×7, first 2 shown]
	v_fmac_f64_e32 v[76:77], s[8:9], v[82:83]
	v_fmac_f64_e32 v[0:1], s[8:9], v[82:83]
	v_add_f64 v[82:83], v[74:75], v[92:93]
	v_fma_f64 v[74:75], -0.5, v[18:19], v[2:3]
	v_add_f64 v[96:97], v[86:87], -v[98:99]
	v_add_f64 v[86:87], v[90:91], -v[94:95]
	;; [unrolled: 1-line block ×4, first 2 shown]
	v_add_f64 v[90:91], v[18:19], v[90:91]
	v_fma_f64 v[18:19], s[12:13], v[96:97], v[74:75]
	v_fmac_f64_e32 v[74:75], s[14:15], v[96:97]
	v_fmac_f64_e32 v[18:19], s[16:17], v[86:87]
	;; [unrolled: 1-line block ×5, first 2 shown]
	v_add_f64 v[90:91], v[78:79], v[92:93]
	v_fmac_f64_e32 v[2:3], -0.5, v[90:91]
	v_add_f64 v[78:79], v[84:85], -v[78:79]
	v_add_f64 v[84:85], v[88:89], -v[92:93]
	v_fmac_f64_e32 v[24:25], s[12:13], v[110:111]
	v_fmac_f64_e32 v[26:27], s[14:15], v[114:115]
	v_add_f64 v[90:91], v[78:79], v[84:85]
	v_fma_f64 v[78:79], s[14:15], v[86:87], v[2:3]
	v_fmac_f64_e32 v[2:3], s[12:13], v[86:87]
	v_fmac_f64_e32 v[24:25], s[16:17], v[112:113]
	;; [unrolled: 1-line block ×8, first 2 shown]
	v_add_f64 v[70:71], v[70:71], v[100:101]
	v_fmac_f64_e32 v[78:79], s[8:9], v[90:91]
	ds_write_b128 v148, v[24:27] offset:1088
	ds_write_b128 v148, v[64:67] offset:1360
	;; [unrolled: 1-line block ×21, first 2 shown]
	s_waitcnt lgkmcnt(0)
	; wave barrier
	s_waitcnt lgkmcnt(0)
	ds_read_b128 v[20:23], v148 offset:1360
	ds_read_b128 v[0:3], v148
	ds_read_b128 v[4:7], v148 offset:272
	ds_read_b128 v[24:27], v148 offset:2720
	;; [unrolled: 1-line block ×18, first 2 shown]
	s_waitcnt lgkmcnt(14)
	v_mul_f64 v[142:143], v[206:207], v[30:31]
	v_fmac_f64_e32 v[142:143], v[204:205], v[28:29]
	v_mul_f64 v[28:29], v[206:207], v[28:29]
	v_mul_f64 v[64:65], v[178:179], v[22:23]
	v_fma_f64 v[144:145], v[204:205], v[30:31], -v[28:29]
	s_waitcnt lgkmcnt(10)
	v_mul_f64 v[28:29], v[202:203], v[48:49]
	v_fmac_f64_e32 v[64:65], v[176:177], v[20:21]
	v_mul_f64 v[20:21], v[178:179], v[20:21]
	v_fma_f64 v[152:153], v[200:201], v[50:51], -v[28:29]
	v_mul_f64 v[28:29], v[182:183], v[36:37]
	v_fma_f64 v[126:127], v[176:177], v[22:23], -v[20:21]
	ds_read_b128 v[20:23], v148 offset:4080
	ds_read_b128 v[122:125], v148 offset:3808
	v_fma_f64 v[154:155], v[180:181], v[38:39], -v[28:29]
	v_mul_f64 v[28:29], v[232:233], v[44:45]
	v_mul_f64 v[146:147], v[202:203], v[50:51]
	;; [unrolled: 1-line block ×3, first 2 shown]
	v_fma_f64 v[68:69], v[230:231], v[46:47], -v[28:29]
	s_waitcnt lgkmcnt(8)
	v_mul_f64 v[28:29], v[228:229], v[58:59]
	v_fmac_f64_e32 v[50:51], v[180:181], v[36:37]
	v_fma_f64 v[70:71], v[226:227], v[60:61], -v[28:29]
	v_mul_f64 v[28:29], v[218:219], v[54:55]
	v_accvgpr_read_b32 v36, a134
	v_fma_f64 v[72:73], v[216:217], v[56:57], -v[28:29]
	s_waitcnt lgkmcnt(6)
	v_mul_f64 v[28:29], v[214:215], v[90:91]
	v_accvgpr_read_b32 v38, a136
	v_accvgpr_read_b32 v39, a137
	v_mul_f64 v[128:129], v[174:175], v[26:27]
	s_waitcnt lgkmcnt(1)
	v_mul_f64 v[132:133], v[170:171], v[22:23]
	v_fma_f64 v[74:75], v[212:213], v[92:93], -v[28:29]
	v_accvgpr_read_b32 v37, a135
	v_mul_f64 v[78:79], v[38:39], v[100:101]
	v_mul_f64 v[28:29], v[38:39], v[98:99]
	v_fmac_f64_e32 v[128:129], v[172:173], v[24:25]
	v_mul_f64 v[24:25], v[174:175], v[24:25]
	v_fmac_f64_e32 v[132:133], v[168:169], v[20:21]
	;; [unrolled: 2-line block ×3, first 2 shown]
	v_fma_f64 v[102:103], v[36:37], v[100:101], -v[28:29]
	v_accvgpr_read_b32 v36, a126
	v_fma_f64 v[130:131], v[172:173], v[26:27], -v[24:25]
	v_fma_f64 v[134:135], v[168:169], v[22:23], -v[20:21]
	ds_read_b128 v[20:23], v148 offset:4896
	ds_read_b128 v[24:27], v148 offset:5168
	v_accvgpr_read_b32 v38, a128
	v_accvgpr_read_b32 v39, a129
	v_accvgpr_read_b32 v37, a127
	v_mul_f64 v[28:29], v[38:39], v[80:81]
	v_fma_f64 v[104:105], v[36:37], v[82:83], -v[28:29]
	v_accvgpr_read_b32 v28, a130
	v_accvgpr_read_b32 v30, a132
	;; [unrolled: 1-line block ×4, first 2 shown]
	s_waitcnt lgkmcnt(1)
	v_mul_f64 v[112:113], v[30:31], v[22:23]
	v_fmac_f64_e32 v[112:113], v[28:29], v[20:21]
	v_mul_f64 v[20:21], v[30:31], v[20:21]
	v_fma_f64 v[106:107], v[28:29], v[22:23], -v[20:21]
	v_accvgpr_read_b32 v28, a150
	v_mul_f64 v[114:115], v[238:239], v[96:97]
	v_mul_f64 v[20:21], v[238:239], v[94:95]
	v_accvgpr_read_b32 v30, a152
	v_accvgpr_read_b32 v31, a153
	v_mul_f64 v[110:111], v[38:39], v[82:83]
	v_fmac_f64_e32 v[114:115], v[236:237], v[94:95]
	v_fma_f64 v[108:109], v[236:237], v[96:97], -v[20:21]
	v_accvgpr_read_b32 v29, a151
	v_mul_f64 v[94:95], v[30:31], v[120:121]
	v_mul_f64 v[20:21], v[30:31], v[118:119]
	v_fmac_f64_e32 v[110:111], v[36:37], v[80:81]
	v_fmac_f64_e32 v[94:95], v[28:29], v[118:119]
	v_fma_f64 v[80:81], v[28:29], v[120:121], -v[20:21]
	v_accvgpr_read_b32 v28, a138
	v_mul_f64 v[136:137], v[166:167], v[34:35]
	v_accvgpr_read_b32 v30, a140
	v_accvgpr_read_b32 v31, a141
	v_fmac_f64_e32 v[136:137], v[164:165], v[32:33]
	v_mul_f64 v[32:33], v[166:167], v[32:33]
	v_accvgpr_read_b32 v29, a139
	v_mul_f64 v[96:97], v[30:31], v[124:125]
	v_mul_f64 v[20:21], v[30:31], v[122:123]
	v_fma_f64 v[138:139], v[164:165], v[34:35], -v[32:33]
	ds_read_b128 v[32:35], v148 offset:6528
	v_fmac_f64_e32 v[96:97], v[28:29], v[122:123]
	v_fma_f64 v[82:83], v[28:29], v[124:125], -v[20:21]
	v_accvgpr_read_b32 v28, a146
	v_accvgpr_read_b32 v30, a148
	;; [unrolled: 1-line block ×4, first 2 shown]
	s_waitcnt lgkmcnt(1)
	v_mul_f64 v[98:99], v[30:31], v[26:27]
	v_fmac_f64_e32 v[98:99], v[28:29], v[24:25]
	v_mul_f64 v[20:21], v[30:31], v[24:25]
	v_accvgpr_read_b32 v22, a142
	v_mul_f64 v[116:117], v[214:215], v[92:93]
	v_accvgpr_read_b32 v24, a144
	v_accvgpr_read_b32 v25, a145
	v_fmac_f64_e32 v[116:117], v[212:213], v[90:91]
	v_fma_f64 v[90:91], v[28:29], v[26:27], -v[20:21]
	v_accvgpr_read_b32 v23, a143
	s_waitcnt lgkmcnt(0)
	v_mul_f64 v[20:21], v[24:25], v[32:33]
	v_fma_f64 v[92:93], v[22:23], v[34:35], -v[20:21]
	v_add_f64 v[20:21], v[0:1], v[64:65]
	v_add_f64 v[20:21], v[20:21], v[128:129]
	;; [unrolled: 1-line block ×3, first 2 shown]
	v_mul_f64 v[100:101], v[24:25], v[34:35]
	v_add_f64 v[24:25], v[20:21], v[136:137]
	v_add_f64 v[20:21], v[128:129], v[132:133]
	v_fmac_f64_e32 v[100:101], v[22:23], v[32:33]
	v_fma_f64 v[20:21], -0.5, v[20:21], v[0:1]
	v_add_f64 v[22:23], v[126:127], -v[138:139]
	v_fma_f64 v[28:29], s[14:15], v[22:23], v[20:21]
	v_add_f64 v[26:27], v[130:131], -v[134:135]
	v_add_f64 v[30:31], v[64:65], -v[128:129]
	;; [unrolled: 1-line block ×3, first 2 shown]
	v_fmac_f64_e32 v[20:21], s[12:13], v[22:23]
	v_fmac_f64_e32 v[28:29], s[0:1], v[26:27]
	v_add_f64 v[30:31], v[30:31], v[32:33]
	v_fmac_f64_e32 v[20:21], s[16:17], v[26:27]
	v_fmac_f64_e32 v[28:29], s[8:9], v[30:31]
	;; [unrolled: 1-line block ×3, first 2 shown]
	v_add_f64 v[30:31], v[64:65], v[136:137]
	v_fmac_f64_e32 v[0:1], -0.5, v[30:31]
	v_fma_f64 v[32:33], s[12:13], v[26:27], v[0:1]
	v_fmac_f64_e32 v[0:1], s[14:15], v[26:27]
	v_fmac_f64_e32 v[32:33], s[0:1], v[22:23]
	;; [unrolled: 1-line block ×3, first 2 shown]
	v_add_f64 v[22:23], v[2:3], v[126:127]
	v_add_f64 v[22:23], v[22:23], v[130:131]
	;; [unrolled: 1-line block ×3, first 2 shown]
	v_mul_f64 v[140:141], v[210:211], v[42:43]
	v_add_f64 v[30:31], v[128:129], -v[64:65]
	v_add_f64 v[34:35], v[132:133], -v[136:137]
	v_add_f64 v[26:27], v[22:23], v[138:139]
	v_add_f64 v[22:23], v[130:131], v[134:135]
	v_fmac_f64_e32 v[140:141], v[208:209], v[40:41]
	v_mul_f64 v[40:41], v[210:211], v[40:41]
	v_add_f64 v[30:31], v[30:31], v[34:35]
	v_fma_f64 v[22:23], -0.5, v[22:23], v[2:3]
	v_add_f64 v[36:37], v[64:65], -v[136:137]
	v_fma_f64 v[52:53], v[208:209], v[42:43], -v[40:41]
	v_fmac_f64_e32 v[32:33], s[8:9], v[30:31]
	v_fmac_f64_e32 v[0:1], s[8:9], v[30:31]
	v_fma_f64 v[30:31], s[12:13], v[36:37], v[22:23]
	v_add_f64 v[38:39], v[128:129], -v[132:133]
	v_add_f64 v[34:35], v[126:127], -v[130:131]
	;; [unrolled: 1-line block ×3, first 2 shown]
	v_fmac_f64_e32 v[22:23], s[14:15], v[36:37]
	v_fmac_f64_e32 v[30:31], s[16:17], v[38:39]
	v_add_f64 v[34:35], v[34:35], v[40:41]
	v_fmac_f64_e32 v[22:23], s[0:1], v[38:39]
	v_fmac_f64_e32 v[30:31], s[8:9], v[34:35]
	;; [unrolled: 1-line block ×3, first 2 shown]
	v_add_f64 v[34:35], v[126:127], v[138:139]
	v_fmac_f64_e32 v[2:3], -0.5, v[34:35]
	v_fma_f64 v[34:35], s[14:15], v[38:39], v[2:3]
	v_fmac_f64_e32 v[2:3], s[12:13], v[38:39]
	v_fmac_f64_e32 v[34:35], s[16:17], v[36:37]
	;; [unrolled: 1-line block ×3, first 2 shown]
	v_add_f64 v[36:37], v[4:5], v[140:141]
	v_fmac_f64_e32 v[146:147], v[200:201], v[48:49]
	v_add_f64 v[40:41], v[130:131], -v[126:127]
	v_add_f64 v[42:43], v[134:135], -v[138:139]
	v_add_f64 v[36:37], v[36:37], v[142:143]
	v_add_f64 v[40:41], v[40:41], v[42:43]
	;; [unrolled: 1-line block ×3, first 2 shown]
	v_fmac_f64_e32 v[34:35], s[8:9], v[40:41]
	v_fmac_f64_e32 v[2:3], s[8:9], v[40:41]
	v_add_f64 v[40:41], v[36:37], v[50:51]
	v_add_f64 v[36:37], v[142:143], v[146:147]
	v_mul_f64 v[62:63], v[232:233], v[46:47]
	v_fma_f64 v[36:37], -0.5, v[36:37], v[4:5]
	v_add_f64 v[38:39], v[52:53], -v[154:155]
	v_fmac_f64_e32 v[62:63], v[230:231], v[44:45]
	v_fma_f64 v[44:45], s[14:15], v[38:39], v[36:37]
	v_add_f64 v[42:43], v[144:145], -v[152:153]
	v_add_f64 v[46:47], v[140:141], -v[142:143]
	;; [unrolled: 1-line block ×3, first 2 shown]
	v_fmac_f64_e32 v[36:37], s[12:13], v[38:39]
	v_fmac_f64_e32 v[44:45], s[0:1], v[42:43]
	v_add_f64 v[46:47], v[46:47], v[48:49]
	v_fmac_f64_e32 v[36:37], s[16:17], v[42:43]
	v_fmac_f64_e32 v[44:45], s[8:9], v[46:47]
	v_fmac_f64_e32 v[36:37], s[8:9], v[46:47]
	v_add_f64 v[46:47], v[140:141], v[50:51]
	v_fmac_f64_e32 v[4:5], -0.5, v[46:47]
	v_fma_f64 v[48:49], s[12:13], v[42:43], v[4:5]
	v_fmac_f64_e32 v[4:5], s[14:15], v[42:43]
	v_fmac_f64_e32 v[48:49], s[0:1], v[38:39]
	v_fmac_f64_e32 v[4:5], s[16:17], v[38:39]
	v_add_f64 v[38:39], v[6:7], v[52:53]
	v_add_f64 v[38:39], v[38:39], v[144:145]
	v_mul_f64 v[76:77], v[218:219], v[56:57]
	v_add_f64 v[38:39], v[38:39], v[152:153]
	v_fmac_f64_e32 v[76:77], v[216:217], v[54:55]
	v_add_f64 v[46:47], v[142:143], -v[140:141]
	v_add_f64 v[54:55], v[146:147], -v[50:51]
	v_add_f64 v[42:43], v[38:39], v[154:155]
	v_add_f64 v[38:39], v[144:145], v[152:153]
	v_mul_f64 v[66:67], v[228:229], v[60:61]
	v_add_f64 v[46:47], v[46:47], v[54:55]
	v_fma_f64 v[38:39], -0.5, v[38:39], v[6:7]
	v_add_f64 v[54:55], v[140:141], -v[50:51]
	v_fmac_f64_e32 v[66:67], v[226:227], v[58:59]
	v_fmac_f64_e32 v[48:49], s[8:9], v[46:47]
	;; [unrolled: 1-line block ×3, first 2 shown]
	v_fma_f64 v[46:47], s[12:13], v[54:55], v[38:39]
	v_add_f64 v[56:57], v[142:143], -v[146:147]
	v_add_f64 v[50:51], v[52:53], -v[144:145]
	;; [unrolled: 1-line block ×3, first 2 shown]
	v_fmac_f64_e32 v[38:39], s[14:15], v[54:55]
	v_fmac_f64_e32 v[46:47], s[16:17], v[56:57]
	v_add_f64 v[50:51], v[50:51], v[58:59]
	v_fmac_f64_e32 v[38:39], s[0:1], v[56:57]
	v_fmac_f64_e32 v[46:47], s[8:9], v[50:51]
	;; [unrolled: 1-line block ×3, first 2 shown]
	v_add_f64 v[50:51], v[52:53], v[154:155]
	v_fmac_f64_e32 v[6:7], -0.5, v[50:51]
	v_fma_f64 v[50:51], s[14:15], v[56:57], v[6:7]
	v_add_f64 v[52:53], v[144:145], -v[52:53]
	v_add_f64 v[58:59], v[152:153], -v[154:155]
	v_fmac_f64_e32 v[6:7], s[12:13], v[56:57]
	v_fmac_f64_e32 v[50:51], s[16:17], v[54:55]
	v_add_f64 v[52:53], v[52:53], v[58:59]
	v_fmac_f64_e32 v[6:7], s[0:1], v[54:55]
	v_fmac_f64_e32 v[50:51], s[8:9], v[52:53]
	;; [unrolled: 1-line block ×3, first 2 shown]
	v_add_f64 v[52:53], v[12:13], v[62:63]
	v_add_f64 v[52:53], v[52:53], v[66:67]
	v_add_f64 v[52:53], v[52:53], v[76:77]
	v_add_f64 v[56:57], v[52:53], v[116:117]
	v_add_f64 v[52:53], v[66:67], v[76:77]
	v_fma_f64 v[52:53], -0.5, v[52:53], v[12:13]
	v_add_f64 v[54:55], v[68:69], -v[74:75]
	v_fma_f64 v[60:61], s[14:15], v[54:55], v[52:53]
	v_add_f64 v[58:59], v[70:71], -v[72:73]
	v_add_f64 v[64:65], v[62:63], -v[66:67]
	;; [unrolled: 1-line block ×3, first 2 shown]
	v_fmac_f64_e32 v[52:53], s[12:13], v[54:55]
	v_fmac_f64_e32 v[60:61], s[0:1], v[58:59]
	v_add_f64 v[64:65], v[64:65], v[118:119]
	v_fmac_f64_e32 v[52:53], s[16:17], v[58:59]
	v_fmac_f64_e32 v[60:61], s[8:9], v[64:65]
	;; [unrolled: 1-line block ×3, first 2 shown]
	v_add_f64 v[64:65], v[62:63], v[116:117]
	v_fmac_f64_e32 v[12:13], -0.5, v[64:65]
	v_fma_f64 v[64:65], s[12:13], v[58:59], v[12:13]
	v_fmac_f64_e32 v[12:13], s[14:15], v[58:59]
	v_fmac_f64_e32 v[64:65], s[0:1], v[54:55]
	;; [unrolled: 1-line block ×3, first 2 shown]
	v_add_f64 v[54:55], v[14:15], v[68:69]
	v_add_f64 v[54:55], v[54:55], v[70:71]
	v_add_f64 v[54:55], v[54:55], v[72:73]
	v_add_f64 v[118:119], v[66:67], -v[62:63]
	v_add_f64 v[120:121], v[76:77], -v[116:117]
	v_add_f64 v[58:59], v[54:55], v[74:75]
	v_add_f64 v[54:55], v[70:71], v[72:73]
	;; [unrolled: 1-line block ×3, first 2 shown]
	v_fma_f64 v[54:55], -0.5, v[54:55], v[14:15]
	v_add_f64 v[116:117], v[62:63], -v[116:117]
	v_fmac_f64_e32 v[64:65], s[8:9], v[118:119]
	v_fmac_f64_e32 v[12:13], s[8:9], v[118:119]
	v_fma_f64 v[62:63], s[12:13], v[116:117], v[54:55]
	v_add_f64 v[76:77], v[66:67], -v[76:77]
	v_add_f64 v[66:67], v[68:69], -v[70:71]
	;; [unrolled: 1-line block ×3, first 2 shown]
	v_fmac_f64_e32 v[54:55], s[14:15], v[116:117]
	v_fmac_f64_e32 v[62:63], s[16:17], v[76:77]
	v_add_f64 v[66:67], v[66:67], v[118:119]
	v_fmac_f64_e32 v[54:55], s[0:1], v[76:77]
	v_fmac_f64_e32 v[62:63], s[8:9], v[66:67]
	;; [unrolled: 1-line block ×3, first 2 shown]
	v_add_f64 v[66:67], v[68:69], v[74:75]
	v_fmac_f64_e32 v[14:15], -0.5, v[66:67]
	v_fma_f64 v[66:67], s[14:15], v[76:77], v[14:15]
	v_add_f64 v[68:69], v[70:71], -v[68:69]
	v_add_f64 v[70:71], v[72:73], -v[74:75]
	v_fmac_f64_e32 v[14:15], s[12:13], v[76:77]
	v_fmac_f64_e32 v[66:67], s[16:17], v[116:117]
	v_add_f64 v[68:69], v[68:69], v[70:71]
	v_fmac_f64_e32 v[14:15], s[0:1], v[116:117]
	v_fmac_f64_e32 v[66:67], s[8:9], v[68:69]
	;; [unrolled: 1-line block ×3, first 2 shown]
	v_add_f64 v[68:69], v[8:9], v[78:79]
	v_add_f64 v[68:69], v[68:69], v[110:111]
	;; [unrolled: 1-line block ×5, first 2 shown]
	v_fma_f64 v[68:69], -0.5, v[68:69], v[8:9]
	v_add_f64 v[70:71], v[102:103], -v[108:109]
	v_fma_f64 v[76:77], s[14:15], v[70:71], v[68:69]
	v_add_f64 v[74:75], v[104:105], -v[106:107]
	v_add_f64 v[116:117], v[78:79], -v[110:111]
	;; [unrolled: 1-line block ×3, first 2 shown]
	v_fmac_f64_e32 v[68:69], s[12:13], v[70:71]
	v_fmac_f64_e32 v[76:77], s[0:1], v[74:75]
	v_add_f64 v[116:117], v[116:117], v[118:119]
	v_fmac_f64_e32 v[68:69], s[16:17], v[74:75]
	v_fmac_f64_e32 v[76:77], s[8:9], v[116:117]
	;; [unrolled: 1-line block ×3, first 2 shown]
	v_add_f64 v[116:117], v[78:79], v[114:115]
	v_fmac_f64_e32 v[8:9], -0.5, v[116:117]
	v_fma_f64 v[116:117], s[12:13], v[74:75], v[8:9]
	v_fmac_f64_e32 v[8:9], s[14:15], v[74:75]
	v_fmac_f64_e32 v[116:117], s[0:1], v[70:71]
	;; [unrolled: 1-line block ×3, first 2 shown]
	v_add_f64 v[70:71], v[10:11], v[102:103]
	v_add_f64 v[70:71], v[70:71], v[104:105]
	;; [unrolled: 1-line block ×3, first 2 shown]
	v_add_f64 v[118:119], v[110:111], -v[78:79]
	v_add_f64 v[120:121], v[112:113], -v[114:115]
	v_add_f64 v[74:75], v[70:71], v[108:109]
	v_add_f64 v[70:71], v[104:105], v[106:107]
	;; [unrolled: 1-line block ×3, first 2 shown]
	v_fma_f64 v[70:71], -0.5, v[70:71], v[10:11]
	v_add_f64 v[114:115], v[78:79], -v[114:115]
	v_fmac_f64_e32 v[116:117], s[8:9], v[118:119]
	v_fmac_f64_e32 v[8:9], s[8:9], v[118:119]
	v_fma_f64 v[78:79], s[12:13], v[114:115], v[70:71]
	v_add_f64 v[110:111], v[110:111], -v[112:113]
	v_add_f64 v[112:113], v[102:103], -v[104:105]
	;; [unrolled: 1-line block ×3, first 2 shown]
	v_fmac_f64_e32 v[70:71], s[14:15], v[114:115]
	v_fmac_f64_e32 v[78:79], s[16:17], v[110:111]
	v_add_f64 v[112:113], v[112:113], v[118:119]
	v_fmac_f64_e32 v[70:71], s[0:1], v[110:111]
	v_fmac_f64_e32 v[78:79], s[8:9], v[112:113]
	v_fmac_f64_e32 v[70:71], s[8:9], v[112:113]
	v_add_f64 v[112:113], v[102:103], v[108:109]
	v_add_f64 v[102:103], v[104:105], -v[102:103]
	v_add_f64 v[104:105], v[106:107], -v[108:109]
	v_fmac_f64_e32 v[10:11], -0.5, v[112:113]
	v_add_f64 v[102:103], v[102:103], v[104:105]
	v_add_f64 v[104:105], v[96:97], v[98:99]
	v_fma_f64 v[118:119], s[14:15], v[110:111], v[10:11]
	v_fmac_f64_e32 v[10:11], s[12:13], v[110:111]
	v_fma_f64 v[106:107], -0.5, v[104:105], v[16:17]
	v_add_f64 v[104:105], v[80:81], -v[92:93]
	v_fmac_f64_e32 v[118:119], s[16:17], v[114:115]
	v_fmac_f64_e32 v[10:11], s[0:1], v[114:115]
	v_fma_f64 v[110:111], s[14:15], v[104:105], v[106:107]
	v_add_f64 v[108:109], v[82:83], -v[90:91]
	v_add_f64 v[112:113], v[94:95], -v[96:97]
	v_add_f64 v[114:115], v[100:101], -v[98:99]
	v_fmac_f64_e32 v[106:107], s[12:13], v[104:105]
	v_fmac_f64_e32 v[110:111], s[0:1], v[108:109]
	v_add_f64 v[112:113], v[112:113], v[114:115]
	v_fmac_f64_e32 v[106:107], s[16:17], v[108:109]
	v_fmac_f64_e32 v[110:111], s[8:9], v[112:113]
	;; [unrolled: 1-line block ×3, first 2 shown]
	v_add_f64 v[112:113], v[94:95], v[100:101]
	v_fmac_f64_e32 v[118:119], s[8:9], v[102:103]
	v_fmac_f64_e32 v[10:11], s[8:9], v[102:103]
	v_add_f64 v[102:103], v[16:17], v[94:95]
	v_fmac_f64_e32 v[16:17], -0.5, v[112:113]
	v_add_f64 v[102:103], v[102:103], v[96:97]
	v_fma_f64 v[120:121], s[12:13], v[108:109], v[16:17]
	v_add_f64 v[112:113], v[96:97], -v[94:95]
	v_add_f64 v[114:115], v[98:99], -v[100:101]
	v_fmac_f64_e32 v[16:17], s[14:15], v[108:109]
	v_add_f64 v[108:109], v[82:83], v[90:91]
	v_add_f64 v[102:103], v[102:103], v[98:99]
	v_fmac_f64_e32 v[120:121], s[0:1], v[104:105]
	v_add_f64 v[112:113], v[112:113], v[114:115]
	v_fmac_f64_e32 v[16:17], s[16:17], v[104:105]
	v_fma_f64 v[108:109], -0.5, v[108:109], v[18:19]
	v_add_f64 v[94:95], v[94:95], -v[100:101]
	v_add_f64 v[102:103], v[102:103], v[100:101]
	v_fmac_f64_e32 v[120:121], s[8:9], v[112:113]
	v_fmac_f64_e32 v[16:17], s[8:9], v[112:113]
	v_fma_f64 v[112:113], s[12:13], v[94:95], v[108:109]
	v_add_f64 v[96:97], v[96:97], -v[98:99]
	v_add_f64 v[98:99], v[80:81], -v[82:83]
	;; [unrolled: 1-line block ×3, first 2 shown]
	v_fmac_f64_e32 v[108:109], s[14:15], v[94:95]
	v_fmac_f64_e32 v[112:113], s[16:17], v[96:97]
	v_add_f64 v[98:99], v[98:99], v[100:101]
	v_fmac_f64_e32 v[108:109], s[0:1], v[96:97]
	v_fmac_f64_e32 v[112:113], s[8:9], v[98:99]
	;; [unrolled: 1-line block ×3, first 2 shown]
	v_add_f64 v[98:99], v[80:81], v[92:93]
	v_add_f64 v[104:105], v[18:19], v[80:81]
	v_fmac_f64_e32 v[18:19], -0.5, v[98:99]
	v_add_f64 v[104:105], v[104:105], v[82:83]
	v_fma_f64 v[122:123], s[14:15], v[96:97], v[18:19]
	v_add_f64 v[80:81], v[82:83], -v[80:81]
	v_add_f64 v[82:83], v[90:91], -v[92:93]
	v_fmac_f64_e32 v[18:19], s[12:13], v[96:97]
	v_add_f64 v[104:105], v[104:105], v[90:91]
	v_fmac_f64_e32 v[122:123], s[16:17], v[94:95]
	v_add_f64 v[80:81], v[80:81], v[82:83]
	;; [unrolled: 2-line block ×3, first 2 shown]
	v_fmac_f64_e32 v[122:123], s[8:9], v[80:81]
	v_fmac_f64_e32 v[18:19], s[8:9], v[80:81]
	ds_write_b128 v148, v[24:27]
	ds_write_b128 v150, v[28:31] offset:1360
	ds_write_b128 v150, v[32:35] offset:2720
	;; [unrolled: 1-line block ×24, first 2 shown]
	s_waitcnt lgkmcnt(0)
	; wave barrier
	s_waitcnt lgkmcnt(0)
	ds_read_b128 v[0:3], v148
	v_accvgpr_read_b32 v156, a2
	v_mov_b32_e32 v84, s10
	v_mov_b32_e32 v85, s11
	v_mad_u64_u32 v[86:87], s[10:11], s6, v156, 0
	v_mov_b32_e32 v88, v87
	v_accvgpr_read_b32 v13, a7
	v_mad_u64_u32 v[4:5], s[0:1], s7, v156, v[88:89]
	v_accvgpr_read_b32 v12, a6
	v_mov_b32_e32 v87, v4
	ds_read_b128 v[4:7], v148 offset:400
	v_accvgpr_read_b32 v11, a5
	v_accvgpr_read_b32 v10, a4
	s_waitcnt lgkmcnt(1)
	v_mul_f64 v[8:9], v[12:13], v[2:3]
	v_fmac_f64_e32 v[8:9], v[10:11], v[0:1]
	s_mov_b32 s0, 0xace01346
	v_mul_f64 v[0:1], v[12:13], v[0:1]
	s_mov_b32 s1, 0x3f634679
	v_fma_f64 v[0:1], v[10:11], v[2:3], -v[0:1]
	v_mad_u64_u32 v[2:3], s[6:7], s4, v234, 0
	v_mul_f64 v[10:11], v[0:1], s[0:1]
	v_mov_b32_e32 v0, v3
	v_mad_u64_u32 v[0:1], s[6:7], s5, v234, v[0:1]
	v_mov_b32_e32 v3, v0
	v_lshl_add_u64 v[0:1], v[86:87], 4, v[84:85]
	v_mul_f64 v[8:9], v[8:9], s[0:1]
	v_lshl_add_u64 v[12:13], v[2:3], 4, v[0:1]
	global_store_dwordx4 v[12:13], v[8:11], off
	s_mul_i32 s6, s5, 25
	s_mul_hi_u32 s7, s4, 25
	v_accvgpr_read_b32 v8, a36
	v_accvgpr_read_b32 v10, a38
	;; [unrolled: 1-line block ×4, first 2 shown]
	s_waitcnt lgkmcnt(0)
	v_mul_f64 v[2:3], v[10:11], v[6:7]
	v_fmac_f64_e32 v[2:3], v[8:9], v[4:5]
	v_mul_f64 v[4:5], v[10:11], v[4:5]
	v_fma_f64 v[4:5], v[8:9], v[6:7], -v[4:5]
	ds_read_b128 v[6:9], v148 offset:800
	s_add_i32 s7, s7, s6
	s_mul_i32 s6, s4, 25
	s_lshl_b64 s[6:7], s[6:7], 4
	v_accvgpr_read_b32 v19, a11
	v_mul_f64 v[2:3], v[2:3], s[0:1]
	v_mul_f64 v[4:5], v[4:5], s[0:1]
	v_lshl_add_u64 v[14:15], v[12:13], 0, s[6:7]
	v_accvgpr_read_b32 v18, a10
	global_store_dwordx4 v[14:15], v[2:5], off
	ds_read_b128 v[2:5], v148 offset:1200
	v_accvgpr_read_b32 v17, a9
	v_accvgpr_read_b32 v16, a8
	s_waitcnt lgkmcnt(1)
	v_mul_f64 v[10:11], v[18:19], v[8:9]
	v_fmac_f64_e32 v[10:11], v[16:17], v[6:7]
	v_mul_f64 v[6:7], v[18:19], v[6:7]
	v_fma_f64 v[6:7], v[16:17], v[8:9], -v[6:7]
	v_mul_f64 v[10:11], v[10:11], s[0:1]
	v_mul_f64 v[12:13], v[6:7], s[0:1]
	v_lshl_add_u64 v[14:15], v[14:15], 0, s[6:7]
	global_store_dwordx4 v[14:15], v[10:13], off
	v_accvgpr_read_b32 v8, a32
	v_accvgpr_read_b32 v9, a33
	;; [unrolled: 1-line block ×4, first 2 shown]
	s_waitcnt lgkmcnt(0)
	v_mul_f64 v[6:7], v[10:11], v[4:5]
	v_fmac_f64_e32 v[6:7], v[8:9], v[2:3]
	v_mul_f64 v[2:3], v[10:11], v[2:3]
	v_fma_f64 v[8:9], v[8:9], v[4:5], -v[2:3]
	ds_read_b128 v[2:5], v148 offset:1600
	v_accvgpr_read_b32 v19, a15
	v_mul_f64 v[6:7], v[6:7], s[0:1]
	v_mul_f64 v[8:9], v[8:9], s[0:1]
	v_lshl_add_u64 v[14:15], v[14:15], 0, s[6:7]
	v_accvgpr_read_b32 v18, a14
	global_store_dwordx4 v[14:15], v[6:9], off
	ds_read_b128 v[6:9], v148 offset:2000
	v_accvgpr_read_b32 v17, a13
	v_accvgpr_read_b32 v16, a12
	s_waitcnt lgkmcnt(1)
	v_mul_f64 v[10:11], v[18:19], v[4:5]
	v_fmac_f64_e32 v[10:11], v[16:17], v[2:3]
	v_mul_f64 v[2:3], v[18:19], v[2:3]
	v_fma_f64 v[2:3], v[16:17], v[4:5], -v[2:3]
	v_mul_f64 v[10:11], v[10:11], s[0:1]
	v_mul_f64 v[12:13], v[2:3], s[0:1]
	v_lshl_add_u64 v[14:15], v[14:15], 0, s[6:7]
	global_store_dwordx4 v[14:15], v[10:13], off
	v_accvgpr_read_b32 v16, a16
	v_lshl_add_u64 v[14:15], v[14:15], 0, s[6:7]
	v_accvgpr_read_b32 v10, a24
	v_accvgpr_read_b32 v12, a26
	;; [unrolled: 1-line block ×4, first 2 shown]
	s_waitcnt lgkmcnt(0)
	v_mul_f64 v[2:3], v[12:13], v[8:9]
	v_mul_f64 v[4:5], v[12:13], v[6:7]
	v_fmac_f64_e32 v[2:3], v[10:11], v[6:7]
	v_fma_f64 v[4:5], v[10:11], v[8:9], -v[4:5]
	ds_read_b128 v[6:9], v148 offset:2400
	v_mul_f64 v[2:3], v[2:3], s[0:1]
	v_mul_f64 v[4:5], v[4:5], s[0:1]
	v_accvgpr_read_b32 v18, a18
	v_accvgpr_read_b32 v19, a19
	global_store_dwordx4 v[14:15], v[2:5], off
	ds_read_b128 v[2:5], v148 offset:2800
	v_accvgpr_read_b32 v17, a17
	s_waitcnt lgkmcnt(1)
	v_mul_f64 v[10:11], v[18:19], v[8:9]
	v_fmac_f64_e32 v[10:11], v[16:17], v[6:7]
	v_mul_f64 v[6:7], v[18:19], v[6:7]
	v_fma_f64 v[6:7], v[16:17], v[8:9], -v[6:7]
	v_mul_f64 v[10:11], v[10:11], s[0:1]
	v_mul_f64 v[12:13], v[6:7], s[0:1]
	v_lshl_add_u64 v[14:15], v[14:15], 0, s[6:7]
	global_store_dwordx4 v[14:15], v[10:13], off
	v_accvgpr_read_b32 v8, a28
	v_accvgpr_read_b32 v9, a29
	;; [unrolled: 1-line block ×4, first 2 shown]
	s_waitcnt lgkmcnt(0)
	v_mul_f64 v[6:7], v[10:11], v[4:5]
	v_fmac_f64_e32 v[6:7], v[8:9], v[2:3]
	v_mul_f64 v[2:3], v[10:11], v[2:3]
	v_fma_f64 v[8:9], v[8:9], v[4:5], -v[2:3]
	ds_read_b128 v[2:5], v148 offset:3200
	v_accvgpr_read_b32 v16, a20
	v_mul_f64 v[6:7], v[6:7], s[0:1]
	v_mul_f64 v[8:9], v[8:9], s[0:1]
	v_lshl_add_u64 v[14:15], v[14:15], 0, s[6:7]
	v_accvgpr_read_b32 v18, a22
	v_accvgpr_read_b32 v19, a23
	global_store_dwordx4 v[14:15], v[6:9], off
	ds_read_b128 v[6:9], v148 offset:3600
	v_accvgpr_read_b32 v17, a21
	s_waitcnt lgkmcnt(1)
	v_mul_f64 v[10:11], v[18:19], v[4:5]
	v_fmac_f64_e32 v[10:11], v[16:17], v[2:3]
	v_mul_f64 v[2:3], v[18:19], v[2:3]
	v_fma_f64 v[2:3], v[16:17], v[4:5], -v[2:3]
	v_mul_f64 v[10:11], v[10:11], s[0:1]
	v_mul_f64 v[12:13], v[2:3], s[0:1]
	v_lshl_add_u64 v[14:15], v[14:15], 0, s[6:7]
	global_store_dwordx4 v[14:15], v[10:13], off
	v_accvgpr_read_b32 v16, a60
	v_lshl_add_u64 v[14:15], v[14:15], 0, s[6:7]
	v_accvgpr_read_b32 v10, a68
	v_accvgpr_read_b32 v12, a70
	;; [unrolled: 1-line block ×4, first 2 shown]
	s_waitcnt lgkmcnt(0)
	v_mul_f64 v[2:3], v[12:13], v[8:9]
	v_mul_f64 v[4:5], v[12:13], v[6:7]
	v_fmac_f64_e32 v[2:3], v[10:11], v[6:7]
	v_fma_f64 v[4:5], v[10:11], v[8:9], -v[4:5]
	ds_read_b128 v[6:9], v148 offset:4000
	v_mul_f64 v[2:3], v[2:3], s[0:1]
	v_mul_f64 v[4:5], v[4:5], s[0:1]
	v_accvgpr_read_b32 v18, a62
	v_accvgpr_read_b32 v19, a63
	global_store_dwordx4 v[14:15], v[2:5], off
	ds_read_b128 v[2:5], v148 offset:4400
	v_accvgpr_read_b32 v17, a61
	s_waitcnt lgkmcnt(1)
	v_mul_f64 v[10:11], v[18:19], v[8:9]
	v_fmac_f64_e32 v[10:11], v[16:17], v[6:7]
	v_mul_f64 v[6:7], v[18:19], v[6:7]
	v_fma_f64 v[6:7], v[16:17], v[8:9], -v[6:7]
	v_mul_f64 v[10:11], v[10:11], s[0:1]
	v_mul_f64 v[12:13], v[6:7], s[0:1]
	v_lshl_add_u64 v[14:15], v[14:15], 0, s[6:7]
	global_store_dwordx4 v[14:15], v[10:13], off
	v_accvgpr_read_b32 v8, a48
	v_accvgpr_read_b32 v9, a49
	;; [unrolled: 1-line block ×4, first 2 shown]
	s_waitcnt lgkmcnt(0)
	v_mul_f64 v[6:7], v[10:11], v[4:5]
	v_fmac_f64_e32 v[6:7], v[8:9], v[2:3]
	v_mul_f64 v[2:3], v[10:11], v[2:3]
	v_fma_f64 v[8:9], v[8:9], v[4:5], -v[2:3]
	ds_read_b128 v[2:5], v148 offset:4800
	v_accvgpr_read_b32 v16, a40
	v_mul_f64 v[6:7], v[6:7], s[0:1]
	v_mul_f64 v[8:9], v[8:9], s[0:1]
	v_lshl_add_u64 v[14:15], v[14:15], 0, s[6:7]
	v_accvgpr_read_b32 v18, a42
	v_accvgpr_read_b32 v19, a43
	global_store_dwordx4 v[14:15], v[6:9], off
	ds_read_b128 v[6:9], v148 offset:5200
	v_accvgpr_read_b32 v17, a41
	s_waitcnt lgkmcnt(1)
	v_mul_f64 v[10:11], v[18:19], v[4:5]
	v_fmac_f64_e32 v[10:11], v[16:17], v[2:3]
	v_mul_f64 v[2:3], v[18:19], v[2:3]
	v_fma_f64 v[2:3], v[16:17], v[4:5], -v[2:3]
	scratch_load_dwordx4 v[16:19], off, off offset:40 ; 16-byte Folded Reload
	v_mul_f64 v[10:11], v[10:11], s[0:1]
	v_mul_f64 v[12:13], v[2:3], s[0:1]
	v_lshl_add_u64 v[14:15], v[14:15], 0, s[6:7]
	global_store_dwordx4 v[14:15], v[10:13], off
	v_lshl_add_u64 v[14:15], v[14:15], 0, s[6:7]
	s_nop 0
	v_accvgpr_read_b32 v10, a56
	v_accvgpr_read_b32 v12, a58
	;; [unrolled: 1-line block ×4, first 2 shown]
	s_waitcnt lgkmcnt(0)
	v_mul_f64 v[2:3], v[12:13], v[8:9]
	v_mul_f64 v[4:5], v[12:13], v[6:7]
	v_fmac_f64_e32 v[2:3], v[10:11], v[6:7]
	v_fma_f64 v[4:5], v[10:11], v[8:9], -v[4:5]
	ds_read_b128 v[6:9], v148 offset:5600
	v_mul_f64 v[2:3], v[2:3], s[0:1]
	v_mul_f64 v[4:5], v[4:5], s[0:1]
	global_store_dwordx4 v[14:15], v[2:5], off
	ds_read_b128 v[2:5], v148 offset:6000
	v_lshl_add_u64 v[14:15], v[14:15], 0, s[6:7]
	s_waitcnt vmcnt(2) lgkmcnt(1)
	v_mul_f64 v[10:11], v[18:19], v[8:9]
	v_fmac_f64_e32 v[10:11], v[16:17], v[6:7]
	v_mul_f64 v[6:7], v[18:19], v[6:7]
	v_fma_f64 v[6:7], v[16:17], v[8:9], -v[6:7]
	v_mul_f64 v[10:11], v[10:11], s[0:1]
	v_mul_f64 v[12:13], v[6:7], s[0:1]
	global_store_dwordx4 v[14:15], v[10:13], off
	scratch_load_dwordx4 v[8:11], off, off offset:24 ; 16-byte Folded Reload
	s_waitcnt vmcnt(0) lgkmcnt(0)
	v_mul_f64 v[6:7], v[10:11], v[4:5]
	v_fmac_f64_e32 v[6:7], v[8:9], v[2:3]
	v_mul_f64 v[2:3], v[10:11], v[2:3]
	v_fma_f64 v[2:3], v[8:9], v[4:5], -v[2:3]
	v_mul_f64 v[8:9], v[2:3], s[0:1]
	v_lshl_add_u64 v[2:3], v[14:15], 0, s[6:7]
	scratch_load_dwordx4 v[14:17], off, off offset:8 ; 16-byte Folded Reload
	ds_read_b128 v[10:13], v148 offset:6400
	v_mul_f64 v[6:7], v[6:7], s[0:1]
	global_store_dwordx4 v[2:3], v[6:9], off
	v_lshl_add_u64 v[2:3], v[2:3], 0, s[6:7]
	s_waitcnt vmcnt(1) lgkmcnt(0)
	v_mul_f64 v[4:5], v[16:17], v[12:13]
	v_mul_f64 v[6:7], v[16:17], v[10:11]
	v_fmac_f64_e32 v[4:5], v[14:15], v[10:11]
	v_fma_f64 v[6:7], v[14:15], v[12:13], -v[6:7]
	v_mul_f64 v[4:5], v[4:5], s[0:1]
	v_mul_f64 v[6:7], v[6:7], s[0:1]
	global_store_dwordx4 v[2:3], v[4:7], off
	s_and_b64 exec, exec, vcc
	s_cbranch_execz .LBB0_15
; %bb.14:
	scratch_load_dwordx2 v[20:21], off, off ; 8-byte Folded Reload
	ds_read_b128 v[8:11], v150 offset:272
	v_mov_b32_e32 v12, 0xffffe810
	s_mul_i32 s10, s5, 0xffffe810
	v_mad_u64_u32 v[14:15], s[8:9], s4, v12, v[2:3]
	s_sub_i32 s8, s10, s4
	s_nop 0
	v_add_u32_e32 v15, s8, v15
	v_or_b32_e32 v19, 0xc0, v234
	v_mov_b32_e32 v22, 0x320
	s_waitcnt vmcnt(0)
	global_load_dwordx4 v[4:7], v[20:21], off offset:272
	s_waitcnt vmcnt(0) lgkmcnt(0)
	v_mul_f64 v[2:3], v[10:11], v[6:7]
	v_mul_f64 v[6:7], v[8:9], v[6:7]
	v_fmac_f64_e32 v[2:3], v[8:9], v[4:5]
	v_fma_f64 v[4:5], v[4:5], v[10:11], -v[6:7]
	v_mul_f64 v[2:3], v[2:3], s[0:1]
	v_mul_f64 v[4:5], v[4:5], s[0:1]
	global_store_dwordx4 v[14:15], v[2:5], off
	global_load_dwordx4 v[2:5], v[20:21], off offset:672
	ds_read_b128 v[6:9], v148 offset:672
	ds_read_b128 v[10:13], v148 offset:1072
	v_lshl_add_u64 v[14:15], v[14:15], 0, s[6:7]
	s_waitcnt vmcnt(0) lgkmcnt(1)
	v_mul_f64 v[16:17], v[8:9], v[4:5]
	v_mul_f64 v[4:5], v[6:7], v[4:5]
	v_fmac_f64_e32 v[16:17], v[6:7], v[2:3]
	v_fma_f64 v[4:5], v[2:3], v[8:9], -v[4:5]
	v_mul_f64 v[2:3], v[16:17], s[0:1]
	v_mul_f64 v[4:5], v[4:5], s[0:1]
	global_store_dwordx4 v[14:15], v[2:5], off
	global_load_dwordx4 v[2:5], v[20:21], off offset:1072
	v_lshl_add_u64 v[14:15], v[14:15], 0, s[6:7]
	s_waitcnt vmcnt(0) lgkmcnt(0)
	v_mul_f64 v[6:7], v[12:13], v[4:5]
	v_mul_f64 v[4:5], v[10:11], v[4:5]
	v_fmac_f64_e32 v[6:7], v[10:11], v[2:3]
	v_fma_f64 v[4:5], v[2:3], v[12:13], -v[4:5]
	v_mul_f64 v[2:3], v[6:7], s[0:1]
	v_mul_f64 v[4:5], v[4:5], s[0:1]
	global_store_dwordx4 v[14:15], v[2:5], off
	global_load_dwordx4 v[2:5], v[20:21], off offset:1472
	ds_read_b128 v[6:9], v148 offset:1472
	ds_read_b128 v[10:13], v148 offset:1872
	v_lshl_add_u64 v[14:15], v[14:15], 0, s[6:7]
	s_waitcnt vmcnt(0) lgkmcnt(1)
	v_mul_f64 v[16:17], v[8:9], v[4:5]
	v_mul_f64 v[4:5], v[6:7], v[4:5]
	v_fmac_f64_e32 v[16:17], v[6:7], v[2:3]
	v_fma_f64 v[4:5], v[2:3], v[8:9], -v[4:5]
	v_mul_f64 v[2:3], v[16:17], s[0:1]
	v_mul_f64 v[4:5], v[4:5], s[0:1]
	global_store_dwordx4 v[14:15], v[2:5], off
	global_load_dwordx4 v[2:5], v[20:21], off offset:1872
	v_lshl_add_u64 v[14:15], v[14:15], 0, s[6:7]
	;; [unrolled: 22-line block ×3, first 2 shown]
	v_mad_u64_u32 v[16:17], s[8:9], s4, v19, 0
	v_mov_b32_e32 v18, v17
	v_mad_u64_u32 v[18:19], s[8:9], s5, v19, v[18:19]
	v_mov_b32_e32 v17, v18
	v_lshl_add_u64 v[16:17], v[16:17], 4, v[0:1]
	s_mul_i32 s8, s5, 0x320
	s_movk_i32 s9, 0x1000
	s_waitcnt vmcnt(0) lgkmcnt(0)
	v_mul_f64 v[6:7], v[12:13], v[4:5]
	v_mul_f64 v[4:5], v[10:11], v[4:5]
	v_fmac_f64_e32 v[6:7], v[10:11], v[2:3]
	v_fma_f64 v[4:5], v[2:3], v[12:13], -v[4:5]
	v_mul_f64 v[2:3], v[6:7], s[0:1]
	v_mul_f64 v[4:5], v[4:5], s[0:1]
	global_store_dwordx4 v[14:15], v[2:5], off
	global_load_dwordx4 v[2:5], v[20:21], off offset:3072
	ds_read_b128 v[6:9], v148 offset:3072
	ds_read_b128 v[10:13], v148 offset:3472
	v_mad_u64_u32 v[14:15], s[10:11], s4, v22, v[14:15]
	v_add_u32_e32 v15, s8, v15
	s_waitcnt vmcnt(0) lgkmcnt(1)
	v_mul_f64 v[18:19], v[8:9], v[4:5]
	v_mul_f64 v[4:5], v[6:7], v[4:5]
	v_fmac_f64_e32 v[18:19], v[6:7], v[2:3]
	v_fma_f64 v[4:5], v[2:3], v[8:9], -v[4:5]
	v_mul_f64 v[2:3], v[18:19], s[0:1]
	v_mul_f64 v[4:5], v[4:5], s[0:1]
	global_store_dwordx4 v[16:17], v[2:5], off
	global_load_dwordx4 v[2:5], v[20:21], off offset:3472
	v_add_co_u32_e32 v16, vcc, s9, v20
	s_waitcnt vmcnt(0) lgkmcnt(0)
	v_mul_f64 v[6:7], v[12:13], v[4:5]
	v_mul_f64 v[4:5], v[10:11], v[4:5]
	v_fmac_f64_e32 v[6:7], v[10:11], v[2:3]
	v_fma_f64 v[4:5], v[2:3], v[12:13], -v[4:5]
	v_mul_f64 v[2:3], v[6:7], s[0:1]
	v_mul_f64 v[4:5], v[4:5], s[0:1]
	global_store_dwordx4 v[14:15], v[2:5], off
	global_load_dwordx4 v[2:5], v[20:21], off offset:3872
	ds_read_b128 v[6:9], v148 offset:3872
	ds_read_b128 v[10:13], v148 offset:4272
	v_lshl_add_u64 v[14:15], v[14:15], 0, s[6:7]
	v_addc_co_u32_e32 v17, vcc, 0, v21, vcc
	v_or_b32_e32 v21, 0x188, v234
	s_waitcnt vmcnt(0) lgkmcnt(1)
	v_mul_f64 v[18:19], v[8:9], v[4:5]
	v_mul_f64 v[4:5], v[6:7], v[4:5]
	v_fmac_f64_e32 v[18:19], v[6:7], v[2:3]
	v_fma_f64 v[4:5], v[2:3], v[8:9], -v[4:5]
	v_mul_f64 v[2:3], v[18:19], s[0:1]
	v_mul_f64 v[4:5], v[4:5], s[0:1]
	global_store_dwordx4 v[14:15], v[2:5], off
	global_load_dwordx4 v[2:5], v[16:17], off offset:176
	v_lshl_add_u64 v[14:15], v[14:15], 0, s[6:7]
	s_waitcnt vmcnt(0) lgkmcnt(0)
	v_mul_f64 v[6:7], v[12:13], v[4:5]
	v_mul_f64 v[4:5], v[10:11], v[4:5]
	v_fmac_f64_e32 v[6:7], v[10:11], v[2:3]
	v_fma_f64 v[4:5], v[2:3], v[12:13], -v[4:5]
	v_mul_f64 v[2:3], v[6:7], s[0:1]
	v_mul_f64 v[4:5], v[4:5], s[0:1]
	global_store_dwordx4 v[14:15], v[2:5], off
	global_load_dwordx4 v[2:5], v[16:17], off offset:576
	ds_read_b128 v[6:9], v148 offset:4672
	ds_read_b128 v[10:13], v148 offset:5072
	v_lshl_add_u64 v[14:15], v[14:15], 0, s[6:7]
	s_waitcnt vmcnt(0) lgkmcnt(1)
	v_mul_f64 v[18:19], v[8:9], v[4:5]
	v_mul_f64 v[4:5], v[6:7], v[4:5]
	v_fmac_f64_e32 v[18:19], v[6:7], v[2:3]
	v_fma_f64 v[4:5], v[2:3], v[8:9], -v[4:5]
	v_mul_f64 v[2:3], v[18:19], s[0:1]
	v_mul_f64 v[4:5], v[4:5], s[0:1]
	global_store_dwordx4 v[14:15], v[2:5], off
	global_load_dwordx4 v[2:5], v[16:17], off offset:976
	v_lshl_add_u64 v[14:15], v[14:15], 0, s[6:7]
	s_waitcnt vmcnt(0) lgkmcnt(0)
	v_mul_f64 v[6:7], v[12:13], v[4:5]
	v_mul_f64 v[4:5], v[10:11], v[4:5]
	v_fmac_f64_e32 v[6:7], v[10:11], v[2:3]
	v_fma_f64 v[4:5], v[2:3], v[12:13], -v[4:5]
	v_mul_f64 v[2:3], v[6:7], s[0:1]
	v_mul_f64 v[4:5], v[4:5], s[0:1]
	global_store_dwordx4 v[14:15], v[2:5], off
	global_load_dwordx4 v[2:5], v[16:17], off offset:1376
	ds_read_b128 v[6:9], v148 offset:5472
	ds_read_b128 v[10:13], v148 offset:5872
	v_lshl_add_u64 v[14:15], v[14:15], 0, s[6:7]
	s_waitcnt vmcnt(0) lgkmcnt(1)
	v_mul_f64 v[18:19], v[8:9], v[4:5]
	v_mul_f64 v[4:5], v[6:7], v[4:5]
	v_fmac_f64_e32 v[18:19], v[6:7], v[2:3]
	v_fma_f64 v[4:5], v[2:3], v[8:9], -v[4:5]
	v_mul_f64 v[2:3], v[18:19], s[0:1]
	v_mul_f64 v[4:5], v[4:5], s[0:1]
	global_store_dwordx4 v[14:15], v[2:5], off
	global_load_dwordx4 v[2:5], v[16:17], off offset:1776
	v_lshl_add_u64 v[14:15], v[14:15], 0, s[6:7]
	v_lshlrev_b32_e32 v8, 4, v21
	s_waitcnt vmcnt(0) lgkmcnt(0)
	v_mul_f64 v[6:7], v[12:13], v[4:5]
	v_mul_f64 v[4:5], v[10:11], v[4:5]
	v_fmac_f64_e32 v[6:7], v[10:11], v[2:3]
	v_fma_f64 v[4:5], v[2:3], v[12:13], -v[4:5]
	v_mul_f64 v[2:3], v[6:7], s[0:1]
	v_mul_f64 v[4:5], v[4:5], s[0:1]
	global_store_dwordx4 v[14:15], v[2:5], off
	global_load_dwordx4 v[2:5], v8, s[2:3]
	ds_read_b128 v[6:9], v148 offset:6272
	ds_read_b128 v[10:13], v148 offset:6672
	v_mad_u64_u32 v[18:19], s[2:3], s4, v21, 0
	v_mov_b32_e32 v20, v19
	v_mad_u64_u32 v[20:21], s[2:3], s5, v21, v[20:21]
	v_mov_b32_e32 v19, v20
	v_lshl_add_u64 v[18:19], v[18:19], 4, v[0:1]
	s_waitcnt vmcnt(0) lgkmcnt(1)
	v_mul_f64 v[0:1], v[8:9], v[4:5]
	v_mul_f64 v[4:5], v[6:7], v[4:5]
	v_fmac_f64_e32 v[0:1], v[6:7], v[2:3]
	v_fma_f64 v[2:3], v[2:3], v[8:9], -v[4:5]
	v_mul_f64 v[0:1], v[0:1], s[0:1]
	v_mul_f64 v[2:3], v[2:3], s[0:1]
	global_store_dwordx4 v[18:19], v[0:3], off
	global_load_dwordx4 v[0:3], v[16:17], off offset:2576
	v_mad_u64_u32 v[4:5], s[2:3], s4, v22, v[14:15]
	v_add_u32_e32 v5, s8, v5
	s_waitcnt vmcnt(0) lgkmcnt(0)
	v_mul_f64 v[6:7], v[12:13], v[2:3]
	v_mul_f64 v[2:3], v[10:11], v[2:3]
	v_fmac_f64_e32 v[6:7], v[10:11], v[0:1]
	v_fma_f64 v[2:3], v[0:1], v[12:13], -v[2:3]
	v_mul_f64 v[0:1], v[6:7], s[0:1]
	v_mul_f64 v[2:3], v[2:3], s[0:1]
	global_store_dwordx4 v[4:5], v[0:3], off
.LBB0_15:
	s_endpgm
	.section	.rodata,"a",@progbits
	.p2align	6, 0x0
	.amdhsa_kernel bluestein_single_back_len425_dim1_dp_op_CI_CI
		.amdhsa_group_segment_fixed_size 20400
		.amdhsa_private_segment_fixed_size 60
		.amdhsa_kernarg_size 104
		.amdhsa_user_sgpr_count 2
		.amdhsa_user_sgpr_dispatch_ptr 0
		.amdhsa_user_sgpr_queue_ptr 0
		.amdhsa_user_sgpr_kernarg_segment_ptr 1
		.amdhsa_user_sgpr_dispatch_id 0
		.amdhsa_user_sgpr_kernarg_preload_length 0
		.amdhsa_user_sgpr_kernarg_preload_offset 0
		.amdhsa_user_sgpr_private_segment_size 0
		.amdhsa_uses_dynamic_stack 0
		.amdhsa_enable_private_segment 1
		.amdhsa_system_sgpr_workgroup_id_x 1
		.amdhsa_system_sgpr_workgroup_id_y 0
		.amdhsa_system_sgpr_workgroup_id_z 0
		.amdhsa_system_sgpr_workgroup_info 0
		.amdhsa_system_vgpr_workitem_id 0
		.amdhsa_next_free_vgpr 512
		.amdhsa_next_free_sgpr 60
		.amdhsa_accum_offset 256
		.amdhsa_reserve_vcc 1
		.amdhsa_float_round_mode_32 0
		.amdhsa_float_round_mode_16_64 0
		.amdhsa_float_denorm_mode_32 3
		.amdhsa_float_denorm_mode_16_64 3
		.amdhsa_dx10_clamp 1
		.amdhsa_ieee_mode 1
		.amdhsa_fp16_overflow 0
		.amdhsa_tg_split 0
		.amdhsa_exception_fp_ieee_invalid_op 0
		.amdhsa_exception_fp_denorm_src 0
		.amdhsa_exception_fp_ieee_div_zero 0
		.amdhsa_exception_fp_ieee_overflow 0
		.amdhsa_exception_fp_ieee_underflow 0
		.amdhsa_exception_fp_ieee_inexact 0
		.amdhsa_exception_int_div_zero 0
	.end_amdhsa_kernel
	.text
.Lfunc_end0:
	.size	bluestein_single_back_len425_dim1_dp_op_CI_CI, .Lfunc_end0-bluestein_single_back_len425_dim1_dp_op_CI_CI
                                        ; -- End function
	.section	.AMDGPU.csdata,"",@progbits
; Kernel info:
; codeLenInByte = 50148
; NumSgprs: 66
; NumVgprs: 256
; NumAgprs: 256
; TotalNumVgprs: 512
; ScratchSize: 60
; MemoryBound: 0
; FloatMode: 240
; IeeeMode: 1
; LDSByteSize: 20400 bytes/workgroup (compile time only)
; SGPRBlocks: 8
; VGPRBlocks: 63
; NumSGPRsForWavesPerEU: 66
; NumVGPRsForWavesPerEU: 512
; AccumOffset: 256
; Occupancy: 1
; WaveLimiterHint : 1
; COMPUTE_PGM_RSRC2:SCRATCH_EN: 1
; COMPUTE_PGM_RSRC2:USER_SGPR: 2
; COMPUTE_PGM_RSRC2:TRAP_HANDLER: 0
; COMPUTE_PGM_RSRC2:TGID_X_EN: 1
; COMPUTE_PGM_RSRC2:TGID_Y_EN: 0
; COMPUTE_PGM_RSRC2:TGID_Z_EN: 0
; COMPUTE_PGM_RSRC2:TIDIG_COMP_CNT: 0
; COMPUTE_PGM_RSRC3_GFX90A:ACCUM_OFFSET: 63
; COMPUTE_PGM_RSRC3_GFX90A:TG_SPLIT: 0
	.text
	.p2alignl 6, 3212836864
	.fill 256, 4, 3212836864
	.type	__hip_cuid_f540d225865e2a0f,@object ; @__hip_cuid_f540d225865e2a0f
	.section	.bss,"aw",@nobits
	.globl	__hip_cuid_f540d225865e2a0f
__hip_cuid_f540d225865e2a0f:
	.byte	0                               ; 0x0
	.size	__hip_cuid_f540d225865e2a0f, 1

	.ident	"AMD clang version 19.0.0git (https://github.com/RadeonOpenCompute/llvm-project roc-6.4.0 25133 c7fe45cf4b819c5991fe208aaa96edf142730f1d)"
	.section	".note.GNU-stack","",@progbits
	.addrsig
	.addrsig_sym __hip_cuid_f540d225865e2a0f
	.amdgpu_metadata
---
amdhsa.kernels:
  - .agpr_count:     256
    .args:
      - .actual_access:  read_only
        .address_space:  global
        .offset:         0
        .size:           8
        .value_kind:     global_buffer
      - .actual_access:  read_only
        .address_space:  global
        .offset:         8
        .size:           8
        .value_kind:     global_buffer
      - .actual_access:  read_only
        .address_space:  global
        .offset:         16
        .size:           8
        .value_kind:     global_buffer
      - .actual_access:  read_only
        .address_space:  global
        .offset:         24
        .size:           8
        .value_kind:     global_buffer
      - .actual_access:  read_only
        .address_space:  global
        .offset:         32
        .size:           8
        .value_kind:     global_buffer
      - .offset:         40
        .size:           8
        .value_kind:     by_value
      - .address_space:  global
        .offset:         48
        .size:           8
        .value_kind:     global_buffer
      - .address_space:  global
        .offset:         56
        .size:           8
        .value_kind:     global_buffer
      - .address_space:  global
        .offset:         64
        .size:           8
        .value_kind:     global_buffer
      - .address_space:  global
        .offset:         72
        .size:           8
        .value_kind:     global_buffer
      - .offset:         80
        .size:           4
        .value_kind:     by_value
      - .address_space:  global
        .offset:         88
        .size:           8
        .value_kind:     global_buffer
      - .address_space:  global
        .offset:         96
        .size:           8
        .value_kind:     global_buffer
    .group_segment_fixed_size: 20400
    .kernarg_segment_align: 8
    .kernarg_segment_size: 104
    .language:       OpenCL C
    .language_version:
      - 2
      - 0
    .max_flat_workgroup_size: 51
    .name:           bluestein_single_back_len425_dim1_dp_op_CI_CI
    .private_segment_fixed_size: 60
    .sgpr_count:     66
    .sgpr_spill_count: 0
    .symbol:         bluestein_single_back_len425_dim1_dp_op_CI_CI.kd
    .uniform_work_group_size: 1
    .uses_dynamic_stack: false
    .vgpr_count:     512
    .vgpr_spill_count: 14
    .wavefront_size: 64
amdhsa.target:   amdgcn-amd-amdhsa--gfx950
amdhsa.version:
  - 1
  - 2
...

	.end_amdgpu_metadata
